;; amdgpu-corpus repo=ROCm/rocFFT kind=compiled arch=gfx1030 opt=O3
	.text
	.amdgcn_target "amdgcn-amd-amdhsa--gfx1030"
	.amdhsa_code_object_version 6
	.protected	bluestein_single_fwd_len120_dim1_half_op_CI_CI ; -- Begin function bluestein_single_fwd_len120_dim1_half_op_CI_CI
	.globl	bluestein_single_fwd_len120_dim1_half_op_CI_CI
	.p2align	8
	.type	bluestein_single_fwd_len120_dim1_half_op_CI_CI,@function
bluestein_single_fwd_len120_dim1_half_op_CI_CI: ; @bluestein_single_fwd_len120_dim1_half_op_CI_CI
; %bb.0:
	s_load_dwordx4 s[12:15], s[4:5], 0x28
	v_mul_u32_u24_e32 v1, 0x1556, v0
	s_mov_b32 s0, exec_lo
	v_lshrrev_b32_e32 v1, 16, v1
	v_mad_u64_u32 v[10:11], null, s6, 5, v[1:2]
	v_mov_b32_e32 v11, 0
	s_waitcnt lgkmcnt(0)
	v_cmpx_gt_u64_e64 s[12:13], v[10:11]
	s_cbranch_execz .LBB0_15
; %bb.1:
	s_clause 0x1
	s_load_dwordx4 s[8:11], s[4:5], 0x18
	s_load_dwordx2 s[6:7], s[4:5], 0x0
	v_mul_lo_u16 v1, v1, 12
	v_sub_nc_u16 v9, v0, v1
	v_and_b32_e32 v31, 0xffff, v9
	v_or_b32_e32 v27, 0x50, v31
	v_lshlrev_b32_e32 v11, 2, v31
	v_or_b32_e32 v24, 32, v31
	s_waitcnt lgkmcnt(0)
	s_load_dwordx4 s[0:3], s[8:9], 0x0
	v_or_b32_e32 v26, 0x48, v31
	s_waitcnt lgkmcnt(0)
	v_mad_u64_u32 v[0:1], null, s2, v10, 0
	v_mad_u64_u32 v[2:3], null, s0, v31, 0
	s_mul_i32 s8, s1, 0x50
	s_mul_i32 s12, s0, 0x50
	;; [unrolled: 1-line block ×3, first 2 shown]
	s_mul_hi_u32 s13, s0, 40
	s_mul_i32 s2, s0, 40
	v_mad_u64_u32 v[4:5], null, s3, v10, v[1:2]
	v_mad_u64_u32 v[5:6], null, s0, v27, 0
	s_mul_hi_u32 s3, s0, 0x50
	s_add_i32 s16, s3, s8
	s_add_i32 s3, s13, s9
	v_mad_u64_u32 v[7:8], null, s1, v31, v[3:4]
	v_mov_b32_e32 v1, v4
	v_mov_b32_e32 v4, v6
	s_lshl_b64 s[8:9], s[2:3], 2
	s_load_dwordx2 s[2:3], s[4:5], 0x38
	v_lshlrev_b64 v[0:1], 2, v[0:1]
	v_mov_b32_e32 v3, v7
	v_mad_u64_u32 v[6:7], null, s1, v27, v[4:5]
	v_lshlrev_b64 v[7:8], 2, v[2:3]
	v_add_co_u32 v2, vcc_lo, s14, v0
	v_add_co_ci_u32_e32 v3, vcc_lo, s15, v1, vcc_lo
	v_lshlrev_b64 v[4:5], 2, v[5:6]
	v_add_co_u32 v0, vcc_lo, v2, v7
	v_add_co_ci_u32_e32 v1, vcc_lo, v3, v8, vcc_lo
	v_add_co_u32 v7, vcc_lo, v0, s12
	v_add_co_ci_u32_e32 v8, vcc_lo, s16, v1, vcc_lo
	global_load_dword v12, v[0:1], off
	v_add_co_u32 v0, vcc_lo, v7, s12
	v_add_co_ci_u32_e32 v1, vcc_lo, s16, v8, vcc_lo
	s_clause 0x2
	global_load_dword v34, v11, s[6:7]
	global_load_dword v33, v11, s[6:7] offset:80
	global_load_dword v32, v11, s[6:7] offset:160
	s_clause 0x1
	global_load_dword v6, v[7:8], off
	global_load_dword v7, v[0:1], off
	v_add_co_u32 v0, vcc_lo, v0, s12
	v_add_co_ci_u32_e32 v1, vcc_lo, s16, v1, vcc_lo
	v_add_co_u32 v4, vcc_lo, v2, v4
	v_add_co_ci_u32_e32 v5, vcc_lo, v3, v5, vcc_lo
	global_load_dword v13, v[0:1], off
	v_add_co_u32 v0, vcc_lo, v0, s8
	v_add_co_ci_u32_e32 v1, vcc_lo, s9, v1, vcc_lo
	global_load_dword v30, v11, s[6:7] offset:240
	global_load_dword v4, v[4:5], off
	global_load_dword v29, v11, s[6:7] offset:320
	global_load_dword v5, v[0:1], off
	global_load_dword v28, v11, s[6:7] offset:400
	v_mul_hi_u32 v8, 0xcccccccd, v10
	s_load_dwordx4 s[20:23], s[10:11], 0x0
	s_mov_b32 s12, 0
	v_cmp_gt_u16_e32 vcc_lo, 8, v9
	v_mov_b32_e32 v15, s12
	v_lshrrev_b32_e32 v8, 2, v8
	v_lshl_add_u32 v8, v8, 2, v8
	v_sub_nc_u32_e32 v8, v10, v8
	v_mul_u32_u24_e32 v8, 0x78, v8
	v_lshlrev_b32_e32 v35, 2, v8
	v_add_co_u32 v8, s10, s6, v11
	v_add_co_ci_u32_e64 v9, null, s7, 0, s10
	v_add_nc_u32_e32 v25, v11, v35
	s_waitcnt vmcnt(11)
	v_lshrrev_b32_e32 v14, 16, v12
	s_waitcnt vmcnt(10)
	v_mul_f16_sdwa v16, v34, v12 dst_sel:DWORD dst_unused:UNUSED_PAD src0_sel:WORD_1 src1_sel:DWORD
	v_mul_f16_sdwa v17, v34, v14 dst_sel:DWORD dst_unused:UNUSED_PAD src0_sel:WORD_1 src1_sel:DWORD
	s_waitcnt vmcnt(7)
	v_lshrrev_b32_e32 v18, 16, v6
	s_waitcnt vmcnt(6)
	v_mul_f16_sdwa v19, v32, v7 dst_sel:DWORD dst_unused:UNUSED_PAD src0_sel:WORD_1 src1_sel:DWORD
	v_fma_f16 v11, v34, v14, -v16
	v_lshrrev_b32_e32 v16, 16, v7
	v_fmac_f16_e32 v17, v34, v12
	v_mul_f16_sdwa v12, v33, v18 dst_sel:DWORD dst_unused:UNUSED_PAD src0_sel:WORD_1 src1_sel:DWORD
	v_mul_f16_sdwa v14, v33, v6 dst_sel:DWORD dst_unused:UNUSED_PAD src0_sel:WORD_1 src1_sel:DWORD
	v_pack_b32_f16 v11, v17, v11
	v_fmac_f16_e32 v12, v33, v6
	v_mul_f16_sdwa v6, v32, v16 dst_sel:DWORD dst_unused:UNUSED_PAD src0_sel:WORD_1 src1_sel:DWORD
	v_fma_f16 v14, v33, v18, -v14
	v_fma_f16 v16, v32, v16, -v19
	s_waitcnt vmcnt(5)
	v_lshrrev_b32_e32 v17, 16, v13
	s_waitcnt vmcnt(4)
	v_mul_f16_sdwa v18, v30, v13 dst_sel:DWORD dst_unused:UNUSED_PAD src0_sel:WORD_1 src1_sel:DWORD
	s_waitcnt vmcnt(3)
	v_lshrrev_b32_e32 v19, 16, v4
	v_fmac_f16_e32 v6, v32, v7
	s_waitcnt vmcnt(1)
	v_lshrrev_b32_e32 v7, 16, v5
	v_mul_f16_sdwa v21, v30, v17 dst_sel:DWORD dst_unused:UNUSED_PAD src0_sel:WORD_1 src1_sel:DWORD
	v_fma_f16 v17, v30, v17, -v18
	v_mul_f16_sdwa v18, v29, v19 dst_sel:DWORD dst_unused:UNUSED_PAD src0_sel:WORD_1 src1_sel:DWORD
	s_waitcnt vmcnt(0)
	v_mul_f16_sdwa v22, v28, v5 dst_sel:DWORD dst_unused:UNUSED_PAD src0_sel:WORD_1 src1_sel:DWORD
	v_mul_f16_sdwa v23, v28, v7 dst_sel:DWORD dst_unused:UNUSED_PAD src0_sel:WORD_1 src1_sel:DWORD
	;; [unrolled: 1-line block ×3, first 2 shown]
	v_fmac_f16_e32 v21, v30, v13
	v_fmac_f16_e32 v18, v29, v4
	v_fma_f16 v4, v28, v7, -v22
	v_fmac_f16_e32 v23, v28, v5
	v_fma_f16 v19, v29, v19, -v20
	v_pack_b32_f16 v5, v12, v14
	v_pack_b32_f16 v6, v6, v16
	;; [unrolled: 1-line block ×4, first 2 shown]
	v_or_b32_e32 v23, 0x70, v31
	v_pack_b32_f16 v12, v18, v19
	ds_write2_b32 v25, v11, v5 offset1:20
	ds_write2_b32 v25, v6, v7 offset0:40 offset1:60
	ds_write2_b32 v25, v12, v4 offset0:80 offset1:100
	s_and_saveexec_b32 s10, vcc_lo
	s_cbranch_execz .LBB0_3
; %bb.2:
	v_mad_u64_u32 v[4:5], null, s0, v24, 0
	v_mad_u64_u32 v[6:7], null, s0, v26, 0
	;; [unrolled: 1-line block ×3, first 2 shown]
	s_mul_i32 s11, s1, 0xfffffea0
	global_load_dword v19, v[8:9], off offset:48
	v_mad_u64_u32 v[11:12], null, s1, v24, v[5:6]
	v_mad_u64_u32 v[12:13], null, s0, v23, 0
	s_sub_i32 s0, s11, s0
	v_add_nc_u32_e32 v1, s0, v1
	v_mov_b32_e32 v5, v11
	v_mov_b32_e32 v11, v13
	v_mad_u64_u32 v[13:14], null, s1, v26, v[7:8]
	v_lshlrev_b64 v[4:5], 2, v[4:5]
	global_load_dword v20, v[0:1], off
	v_add_co_u32 v0, s0, v0, s8
	v_mad_u64_u32 v[16:17], null, s1, v23, v[11:12]
	v_add_co_ci_u32_e64 v1, s0, s9, v1, s0
	v_add_co_u32 v4, s0, v2, v4
	v_mov_b32_e32 v7, v13
	v_add_co_ci_u32_e64 v5, s0, v3, v5, s0
	v_add_co_u32 v17, s0, v0, s8
	v_add_co_ci_u32_e64 v18, s0, s9, v1, s0
	v_mov_b32_e32 v13, v16
	global_load_dword v11, v[0:1], off
	v_lshlrev_b64 v[0:1], 2, v[6:7]
	global_load_dword v14, v[8:9], off offset:208
	global_load_dword v16, v[17:18], off
	global_load_dword v17, v[8:9], off offset:368
	v_lshlrev_b64 v[6:7], 2, v[12:13]
	v_add_co_u32 v0, s0, v2, v0
	v_add_co_ci_u32_e64 v1, s0, v3, v1, s0
	v_add_co_u32 v2, s0, v2, v6
	v_add_co_ci_u32_e64 v3, s0, v3, v7, s0
	global_load_dword v4, v[4:5], off
	global_load_dword v5, v[8:9], off offset:128
	global_load_dword v0, v[0:1], off
	global_load_dword v1, v[8:9], off offset:288
	;; [unrolled: 2-line block ×3, first 2 shown]
	s_waitcnt vmcnt(10)
	v_lshrrev_b32_e32 v6, 16, v20
	v_mul_f16_sdwa v7, v19, v20 dst_sel:DWORD dst_unused:UNUSED_PAD src0_sel:WORD_1 src1_sel:DWORD
	v_mul_f16_sdwa v12, v19, v6 dst_sel:DWORD dst_unused:UNUSED_PAD src0_sel:WORD_1 src1_sel:DWORD
	v_fma_f16 v6, v19, v6, -v7
	v_fmac_f16_e32 v12, v19, v20
	v_pack_b32_f16 v6, v12, v6
	s_waitcnt vmcnt(9)
	v_lshrrev_b32_e32 v13, 16, v11
	s_waitcnt vmcnt(7)
	v_lshrrev_b32_e32 v7, 16, v16
	v_mul_f16_sdwa v18, v14, v11 dst_sel:DWORD dst_unused:UNUSED_PAD src0_sel:WORD_1 src1_sel:DWORD
	s_waitcnt vmcnt(6)
	v_mul_f16_sdwa v20, v17, v16 dst_sel:DWORD dst_unused:UNUSED_PAD src0_sel:WORD_1 src1_sel:DWORD
	v_mul_f16_sdwa v19, v14, v13 dst_sel:DWORD dst_unused:UNUSED_PAD src0_sel:WORD_1 src1_sel:DWORD
	v_mul_f16_sdwa v21, v17, v7 dst_sel:DWORD dst_unused:UNUSED_PAD src0_sel:WORD_1 src1_sel:DWORD
	v_fma_f16 v13, v14, v13, -v18
	v_fma_f16 v7, v17, v7, -v20
	v_fmac_f16_e32 v19, v14, v11
	s_waitcnt vmcnt(5)
	v_lshrrev_b32_e32 v11, 16, v4
	s_waitcnt vmcnt(4)
	v_mul_f16_sdwa v12, v5, v4 dst_sel:DWORD dst_unused:UNUSED_PAD src0_sel:WORD_1 src1_sel:DWORD
	s_waitcnt vmcnt(3)
	v_lshrrev_b32_e32 v14, 16, v0
	v_fmac_f16_e32 v21, v17, v16
	s_waitcnt vmcnt(1)
	v_lshrrev_b32_e32 v17, 16, v2
	v_mul_f16_sdwa v20, v5, v11 dst_sel:DWORD dst_unused:UNUSED_PAD src0_sel:WORD_1 src1_sel:DWORD
	v_mul_f16_sdwa v16, v1, v0 dst_sel:DWORD dst_unused:UNUSED_PAD src0_sel:WORD_1 src1_sel:DWORD
	v_fma_f16 v11, v5, v11, -v12
	v_mul_f16_sdwa v12, v1, v14 dst_sel:DWORD dst_unused:UNUSED_PAD src0_sel:WORD_1 src1_sel:DWORD
	s_waitcnt vmcnt(0)
	v_mul_f16_sdwa v18, v3, v2 dst_sel:DWORD dst_unused:UNUSED_PAD src0_sel:WORD_1 src1_sel:DWORD
	v_mul_f16_sdwa v22, v3, v17 dst_sel:DWORD dst_unused:UNUSED_PAD src0_sel:WORD_1 src1_sel:DWORD
	v_fmac_f16_e32 v20, v5, v4
	v_fma_f16 v14, v1, v14, -v16
	v_fmac_f16_e32 v12, v1, v0
	v_fma_f16 v16, v3, v17, -v18
	v_fmac_f16_e32 v22, v3, v2
	v_pack_b32_f16 v2, v20, v11
	v_pack_b32_f16 v0, v19, v13
	;; [unrolled: 1-line block ×5, first 2 shown]
	ds_write2_b32 v25, v6, v2 offset0:12 offset1:32
	ds_write2_b32 v25, v0, v3 offset0:52 offset1:72
	;; [unrolled: 1-line block ×3, first 2 shown]
.LBB0_3:
	s_or_b32 exec_lo, exec_lo, s10
	s_waitcnt lgkmcnt(0)
	s_barrier
	buffer_gl0_inv
	ds_read2_b32 v[11:12], v25 offset1:20
	ds_read2_b32 v[13:14], v25 offset0:40 offset1:60
	ds_read2_b32 v[6:7], v25 offset0:80 offset1:100
	s_load_dwordx2 s[4:5], s[4:5], 0x8
                                        ; implicit-def: $vgpr1
                                        ; implicit-def: $vgpr5
                                        ; implicit-def: $vgpr3
	s_and_saveexec_b32 s0, vcc_lo
	s_cbranch_execz .LBB0_5
; %bb.4:
	ds_read2_b32 v[2:3], v25 offset0:12 offset1:32
	ds_read2_b32 v[4:5], v25 offset0:52 offset1:72
	;; [unrolled: 1-line block ×3, first 2 shown]
.LBB0_5:
	s_or_b32 exec_lo, exec_lo, s0
	s_waitcnt lgkmcnt(0)
	v_pk_add_f16 v16, v1, v5
	v_pk_add_f16 v18, v5, v1 neg_lo:[0,1] neg_hi:[0,1]
	v_pk_add_f16 v19, v4, v0 neg_lo:[0,1] neg_hi:[0,1]
	v_pk_add_f16 v40, v14, v7
	v_pk_add_f16 v38, v12, v14
	v_pk_fma_f16 v16, v16, 0.5, v3 op_sel_hi:[1,0,1] neg_lo:[1,0,0] neg_hi:[1,0,0]
	v_pk_add_f16 v42, v14, v7 neg_lo:[0,1] neg_hi:[0,1]
	v_pk_add_f16 v17, v0, v4
	v_pk_fma_f16 v12, v40, 0.5, v12 op_sel_hi:[1,0,1] neg_lo:[1,0,0] neg_hi:[1,0,0]
	v_pk_add_f16 v21, v11, v13
	v_pk_fma_f16 v20, 0x3aee, v18, v16 op_sel:[0,0,1] op_sel_hi:[0,1,0]
	v_pk_fma_f16 v22, 0x3aee, v18, v16 op_sel:[0,0,1] op_sel_hi:[0,1,0] neg_lo:[0,1,0] neg_hi:[0,1,0]
	v_pk_mul_f16 v18, 0x3aee, v19 op_sel_hi:[0,1]
	v_pk_fma_f16 v17, v17, 0.5, v2 op_sel_hi:[1,0,1] neg_lo:[1,0,0] neg_hi:[1,0,0]
	v_pk_add_f16 v45, v21, v6
	v_lshrrev_b32_e32 v41, 16, v20
	v_bfi_b32 v39, 0xffff, v20, v22
	v_mul_f16_e32 v19, 0x3aee, v22
	v_mul_lo_u16 v37, v31, 6
	v_pk_add_f16 v16, v18, v17 op_sel:[1,0] op_sel_hi:[0,1]
	v_mul_f16_e32 v20, 0xbaee, v41
	v_pk_add_f16 v17, v17, v18 op_sel:[0,1] op_sel_hi:[1,0] neg_lo:[0,1] neg_hi:[0,1]
	v_fmac_f16_e32 v19, 0.5, v41
	v_pk_fma_f16 v41, 0x3aee, v42, v12 op_sel:[0,0,1] op_sel_hi:[0,1,0] neg_lo:[0,1,0] neg_hi:[0,1,0]
	v_pk_mul_f16 v18, v39, 0.5 op_sel_hi:[1,0]
	v_fmac_f16_e32 v20, 0.5, v22
	v_pk_fma_f16 v22, 0x3aee, v42, v12 op_sel:[0,0,1] op_sel_hi:[0,1,0]
	v_pk_add_f16 v42, v13, v6
	v_pk_add_f16 v13, v13, v6 neg_lo:[0,1] neg_hi:[0,1]
	v_pk_add_f16 v7, v38, v7
	v_mul_f16_e32 v38, 0x3aee, v41
	v_lshrrev_b32_e32 v44, 16, v22
	v_bfi_b32 v22, 0xffff, v22, v41
	v_pk_fma_f16 v6, v42, 0.5, v11 op_sel_hi:[1,0,1] neg_lo:[1,0,0] neg_hi:[1,0,0]
	v_pk_mul_f16 v11, 0x3aee, v13 op_sel_hi:[0,1]
	v_bfi_b32 v14, 0xffff, v17, v16
	v_mul_f16_e32 v13, 0xbaee, v44
	v_pk_mul_f16 v21, v22, 0.5 op_sel_hi:[1,0]
	v_pk_fma_f16 v18, 0xbaee3aee, v39, v18 op_sel:[0,0,1] op_sel_hi:[1,1,0] neg_lo:[0,0,1] neg_hi:[0,0,1]
	v_and_b32_e32 v43, 0xffff, v37
	v_pk_add_f16 v42, v6, v11 op_sel:[0,1] op_sel_hi:[1,0]
	v_fmac_f16_e32 v13, 0.5, v41
	v_pk_fma_f16 v21, 0xbaee3aee, v22, v21 op_sel:[0,0,1] op_sel_hi:[1,1,0] neg_lo:[0,0,1] neg_hi:[0,0,1]
	v_pk_add_f16 v11, v6, v11 op_sel:[0,1] op_sel_hi:[1,0] neg_lo:[0,1] neg_hi:[0,1]
	v_fmac_f16_e32 v38, 0.5, v44
	v_add_co_u32 v36, null, v31, 12
	v_pack_b32_f16 v22, v13, v21
	v_pk_add_f16 v37, v14, v18 neg_lo:[0,1] neg_hi:[0,1]
	v_lshl_add_u32 v41, v43, 2, v35
	v_bfi_b32 v43, 0xffff, v11, v42
	v_add_f16_e32 v44, v42, v38
	v_add_f16_sdwa v13, v11, v13 dst_sel:DWORD dst_unused:UNUSED_PAD src0_sel:WORD_1 src1_sel:DWORD
	v_pk_add_f16 v11, v11, v22 op_sel:[1,0] op_sel_hi:[0,1] neg_lo:[0,1] neg_hi:[0,1]
	v_sub_f16_e32 v38, v42, v38
	v_sub_f16_sdwa v46, v42, v21 dst_sel:DWORD dst_unused:UNUSED_PAD src0_sel:WORD_1 src1_sel:WORD_1
	v_sub_f16_e32 v12, v16, v19
	v_sub_f16_sdwa v40, v17, v20 dst_sel:DWORD dst_unused:UNUSED_PAD src0_sel:WORD_1 src1_sel:DWORD
	v_lshrrev_b32_e32 v39, 16, v37
	v_pk_add_f16 v6, v45, v7
	v_pk_add_f16 v21, v43, v21
	v_pk_add_f16 v22, v45, v7 neg_lo:[0,1] neg_hi:[0,1]
	v_pack_b32_f16 v7, v44, v13
	v_pack_b32_f16 v42, v38, v11
	v_mul_u32_u24_e32 v38, 6, v36
	v_alignbit_b32 v43, v46, v11, 16
	s_barrier
	buffer_gl0_inv
	ds_write2_b64 v41, v[6:7], v[21:22] offset1:1
	ds_write_b64 v41, v[42:43] offset:16
	s_and_saveexec_b32 s0, vcc_lo
	s_cbranch_execz .LBB0_7
; %bb.6:
	v_pk_add_f16 v2, v4, v2
	v_pk_add_f16 v3, v5, v3
	v_add_f16_sdwa v4, v17, v20 dst_sel:DWORD dst_unused:UNUSED_PAD src0_sel:WORD_1 src1_sel:DWORD
	v_add_f16_e32 v5, v16, v19
	v_lshl_add_u32 v7, v38, 2, v35
	v_pk_add_f16 v6, v0, v2
	v_pk_add_f16 v1, v1, v3
	;; [unrolled: 1-line block ×3, first 2 shown]
	v_pack_b32_f16 v3, v5, v4
	v_perm_b32 v5, v39, v37, 0x5040100
	v_perm_b32 v4, v40, v12, 0x5040100
	v_pk_add_f16 v2, v1, v6
	v_pk_add_f16 v1, v6, v1 neg_lo:[0,1] neg_hi:[0,1]
	ds_write2_b64 v7, v[2:3], v[0:1] offset1:1
	ds_write_b64 v7, v[4:5] offset:16
.LBB0_7:
	s_or_b32 exec_lo, exec_lo, s0
	v_add_nc_u32_e32 v0, -6, v31
	v_cmp_gt_u16_e64 s0, 6, v31
	s_waitcnt lgkmcnt(0)
	s_barrier
	buffer_gl0_inv
	v_or_b32_e32 v42, 48, v31
	v_cndmask_b32_e64 v11, v0, v31, s0
	v_mov_b32_e32 v43, v15
	v_lshlrev_b32_e32 v47, 2, v31
	v_mul_i32_i24_e32 v0, 36, v11
	v_mul_hi_i32_i24_e32 v1, 36, v11
	v_add_co_u32 v13, s0, s4, v0
	v_add_co_ci_u32_e64 v14, s0, s5, v1, s0
	v_cmp_lt_u16_e64 s0, 5, v31
	s_clause 0x2
	global_load_dwordx4 v[4:7], v[13:14], off
	global_load_dwordx4 v[0:3], v[13:14], off offset:16
	global_load_dword v36, v[13:14], off offset:32
	ds_read2_b32 v[13:14], v25 offset1:12
	ds_read2_b32 v[21:22], v25 offset0:24 offset1:36
	ds_read2_b32 v[19:20], v25 offset0:48 offset1:60
	;; [unrolled: 1-line block ×4, first 2 shown]
	v_cndmask_b32_e64 v16, 0, 60, s0
	v_add_co_u32 v15, s0, v31, -12
	v_add_co_ci_u32_e64 v46, null, 0, -1, s0
	v_cmp_gt_u64_e64 s0, 60, v[42:43]
	v_add_nc_u32_e32 v11, v11, v16
	s_waitcnt vmcnt(0) lgkmcnt(0)
	s_barrier
	buffer_gl0_inv
	v_cndmask_b32_e64 v15, v15, v42, s0
	v_cndmask_b32_e64 v16, v46, 0, s0
	v_lshl_add_u32 v42, v11, 2, v35
	v_lshrrev_b32_e32 v11, 16, v13
	v_lshrrev_b32_e32 v43, 16, v21
	;; [unrolled: 1-line block ×7, first 2 shown]
	v_lshlrev_b64 v[48:49], 2, v[15:16]
	v_lshrrev_b32_e32 v16, 16, v14
	v_lshrrev_b32_e32 v46, 16, v22
	;; [unrolled: 1-line block ×3, first 2 shown]
	v_mul_f16_sdwa v57, v14, v4 dst_sel:DWORD dst_unused:UNUSED_PAD src0_sel:DWORD src1_sel:WORD_1
	v_mul_f16_sdwa v58, v43, v5 dst_sel:DWORD dst_unused:UNUSED_PAD src0_sel:DWORD src1_sel:WORD_1
	;; [unrolled: 1-line block ×18, first 2 shown]
	v_fma_f16 v21, v21, v5, -v58
	v_fmac_f16_e32 v57, v16, v4
	v_fmac_f16_e32 v59, v43, v5
	v_fma_f16 v16, v19, v7, -v62
	v_fmac_f16_e32 v63, v50, v7
	v_fma_f16 v19, v20, v0, -v64
	;; [unrolled: 2-line block ×6, first 2 shown]
	v_fma_f16 v14, v14, v4, -v56
	v_fmac_f16_e32 v61, v46, v6
	v_fma_f16 v43, v45, v36, -v72
	v_fmac_f16_e32 v73, v55, v36
	v_add_f16_e32 v45, v16, v17
	v_sub_f16_e32 v46, v21, v16
	v_sub_f16_e32 v50, v20, v17
	v_add_f16_e32 v51, v21, v20
	v_sub_f16_e32 v52, v16, v21
	v_sub_f16_e32 v53, v17, v20
	;; [unrolled: 1-line block ×6, first 2 shown]
	v_add_f16_e32 v66, v19, v18
	v_add_f16_e32 v79, v65, v69
	;; [unrolled: 1-line block ×9, first 2 shown]
	v_sub_f16_e32 v68, v22, v19
	v_sub_f16_e32 v70, v43, v18
	;; [unrolled: 1-line block ×7, first 2 shown]
	v_add_f16_e32 v46, v46, v50
	v_fma_f16 v45, -0.5, v45, v13
	v_fmac_f16_e32 v13, -0.5, v51
	v_add_f16_e32 v50, v52, v53
	v_add_f16_e32 v51, v56, v58
	;; [unrolled: 1-line block ×3, first 2 shown]
	v_fma_f16 v56, -0.5, v66, v14
	v_fma_f16 v62, -0.5, v79, v57
	v_sub_f16_e32 v84, v16, v17
	v_sub_f16_e32 v86, v19, v18
	;; [unrolled: 1-line block ×3, first 2 shown]
	v_fmac_f16_e32 v14, -0.5, v72
	v_fmac_f16_e32 v57, -0.5, v80
	v_add_f16_e32 v16, v44, v16
	v_add_f16_e32 v44, v54, v63
	;; [unrolled: 1-line block ×5, first 2 shown]
	v_sub_f16_e32 v78, v73, v69
	v_sub_f16_e32 v59, v59, v71
	v_fma_f16 v52, -0.5, v55, v11
	v_add_f16_e32 v55, v68, v70
	v_fmamk_f16 v66, v61, 0x3b9c, v56
	v_fmamk_f16 v68, v22, 0xbb9c, v62
	v_sub_f16_e32 v76, v18, v43
	v_sub_f16_e32 v83, v69, v73
	;; [unrolled: 1-line block ×4, first 2 shown]
	v_add_f16_e32 v16, v16, v17
	v_add_f16_e32 v17, v44, v67
	;; [unrolled: 1-line block ×4, first 2 shown]
	v_fmamk_f16 v67, v87, 0xbb9c, v14
	v_fmac_f16_e32 v14, 0x3b9c, v87
	v_fmamk_f16 v69, v86, 0x3b9c, v57
	v_fmac_f16_e32 v57, 0xbb9c, v86
	v_fmac_f16_e32 v11, -0.5, v60
	v_fmac_f16_e32 v56, 0xbb9c, v61
	v_fmac_f16_e32 v62, 0x3b9c, v22
	v_add_f16_e32 v60, v77, v78
	v_fmamk_f16 v44, v59, 0x3b9c, v45
	v_fmac_f16_e32 v45, 0xbb9c, v59
	v_fmac_f16_e32 v66, 0x38b4, v87
	;; [unrolled: 1-line block ×3, first 2 shown]
	v_add_f16_e32 v58, v75, v76
	v_add_f16_e32 v63, v82, v83
	v_fmamk_f16 v54, v85, 0xbb9c, v13
	v_fmac_f16_e32 v13, 0x3b9c, v85
	v_fmamk_f16 v64, v21, 0xbb9c, v52
	v_fmac_f16_e32 v52, 0x3b9c, v21
	v_fmac_f16_e32 v67, 0x38b4, v61
	;; [unrolled: 1-line block ×5, first 2 shown]
	v_fmamk_f16 v65, v84, 0x3b9c, v11
	v_fmac_f16_e32 v11, 0xbb9c, v84
	v_fmac_f16_e32 v56, 0xb8b4, v87
	;; [unrolled: 1-line block ×3, first 2 shown]
	v_add_f16_e32 v16, v16, v20
	v_fmac_f16_e32 v44, 0x38b4, v85
	v_fmac_f16_e32 v45, 0xb8b4, v85
	v_add_f16_e32 v18, v18, v43
	v_fmac_f16_e32 v66, 0x34f2, v55
	v_fmac_f16_e32 v68, 0x34f2, v60
	;; [unrolled: 1-line block ×4, first 2 shown]
	v_add_f16_e32 v17, v17, v71
	v_fmac_f16_e32 v64, 0xb8b4, v84
	v_fmac_f16_e32 v52, 0x38b4, v84
	v_add_f16_e32 v19, v19, v73
	v_fmac_f16_e32 v67, 0x34f2, v58
	v_fmac_f16_e32 v14, 0x34f2, v58
	;; [unrolled: 1-line block ×10, first 2 shown]
	v_add_f16_e32 v20, v16, v18
	v_sub_f16_e32 v16, v16, v18
	v_mul_f16_e32 v18, 0x38b4, v68
	v_mul_f16_e32 v46, 0xb8b4, v66
	v_fmac_f16_e32 v54, 0x34f2, v50
	v_fmac_f16_e32 v13, 0x34f2, v50
	;; [unrolled: 1-line block ×4, first 2 shown]
	v_add_f16_e32 v21, v17, v19
	v_sub_f16_e32 v17, v17, v19
	v_mul_f16_e32 v19, 0x3b9c, v69
	v_mul_f16_e32 v22, 0x34f2, v14
	;; [unrolled: 1-line block ×4, first 2 shown]
	v_fmac_f16_e32 v65, 0x34f2, v53
	v_fmac_f16_e32 v11, 0x34f2, v53
	v_mul_f16_e32 v43, 0x3a79, v56
	v_mul_f16_e32 v53, 0x3a79, v62
	v_fmac_f16_e32 v18, 0x3a79, v66
	v_fmac_f16_e32 v46, 0x3a79, v68
	v_pack_b32_f16 v16, v16, v17
	v_fmac_f16_e32 v19, 0x34f2, v67
	v_fma_f16 v17, v57, 0x3b9c, -v22
	v_fmac_f16_e32 v50, 0x34f2, v69
	v_fma_f16 v14, v14, 0xbb9c, -v51
	v_pack_b32_f16 v20, v20, v21
	v_fma_f16 v21, v62, 0x38b4, -v43
	v_fma_f16 v22, v56, 0xb8b4, -v53
	v_add_f16_e32 v43, v44, v18
	v_add_f16_e32 v56, v64, v46
	;; [unrolled: 1-line block ×8, first 2 shown]
	v_sub_f16_e32 v18, v44, v18
	v_sub_f16_e32 v19, v54, v19
	;; [unrolled: 1-line block ×8, first 2 shown]
	v_pack_b32_f16 v22, v43, v56
	v_pack_b32_f16 v43, v51, v57
	;; [unrolled: 1-line block ×8, first 2 shown]
	ds_write2_b32 v42, v20, v22 offset1:6
	ds_write2_b32 v42, v43, v45 offset0:12 offset1:18
	ds_write2_b32 v42, v46, v16 offset0:24 offset1:30
	;; [unrolled: 1-line block ×4, first 2 shown]
	v_add_co_u32 v13, s0, s4, v48
	s_waitcnt lgkmcnt(0)
	s_barrier
	buffer_gl0_inv
	s_clause 0x1
	global_load_dword v45, v47, s[4:5] offset:216
	global_load_dword v43, v47, s[4:5] offset:264
	v_add_co_ci_u32_e64 v14, s0, s5, v49, s0
	s_clause 0x2
	global_load_dword v44, v47, s[4:5] offset:312
	global_load_dword v21, v47, s[4:5] offset:360
	global_load_dword v22, v[13:14], off offset:216
	ds_read2_b32 v[16:17], v25 offset1:12
	ds_read2_b32 v[18:19], v25 offset0:48 offset1:60
	ds_read2_b32 v[13:14], v25 offset0:72 offset1:84
	;; [unrolled: 1-line block ×4, first 2 shown]
	v_lshl_add_u32 v46, v15, 2, v35
	s_add_u32 s0, s6, 0x1e0
	s_addc_u32 s1, s7, 0
	s_waitcnt lgkmcnt(4)
	v_lshrrev_b32_e32 v15, 16, v16
	s_waitcnt lgkmcnt(3)
	v_lshrrev_b32_e32 v11, 16, v19
	;; [unrolled: 2-line block ×3, first 2 shown]
	v_lshrrev_b32_e32 v54, 16, v14
	s_waitcnt lgkmcnt(0)
	v_lshrrev_b32_e32 v56, 16, v50
	v_lshrrev_b32_e32 v58, 16, v51
	;; [unrolled: 1-line block ×6, first 2 shown]
	s_waitcnt vmcnt(4)
	v_mul_f16_sdwa v59, v11, v45 dst_sel:DWORD dst_unused:UNUSED_PAD src0_sel:DWORD src1_sel:WORD_1
	v_mul_f16_sdwa v60, v19, v45 dst_sel:DWORD dst_unused:UNUSED_PAD src0_sel:DWORD src1_sel:WORD_1
	s_waitcnt vmcnt(3)
	v_mul_f16_sdwa v61, v52, v43 dst_sel:DWORD dst_unused:UNUSED_PAD src0_sel:DWORD src1_sel:WORD_1
	v_mul_f16_sdwa v62, v13, v43 dst_sel:DWORD dst_unused:UNUSED_PAD src0_sel:DWORD src1_sel:WORD_1
	;; [unrolled: 3-line block ×5, first 2 shown]
	v_fmac_f16_e32 v60, v11, v45
	v_fma_f16 v11, v19, v45, -v59
	v_fma_f16 v13, v13, v43, -v61
	v_fmac_f16_e32 v62, v52, v43
	v_fma_f16 v14, v14, v44, -v63
	v_fmac_f16_e32 v64, v54, v44
	;; [unrolled: 2-line block ×4, first 2 shown]
	v_sub_f16_e32 v54, v16, v11
	v_sub_f16_e32 v56, v15, v60
	;; [unrolled: 1-line block ×10, first 2 shown]
	v_fma_f16 v16, v16, 2.0, -v54
	v_fma_f16 v15, v15, 2.0, -v56
	;; [unrolled: 1-line block ×10, first 2 shown]
	v_pack_b32_f16 v18, v54, v56
	v_pack_b32_f16 v15, v16, v15
	v_pack_b32_f16 v16, v17, v19
	v_pack_b32_f16 v54, v58, v59
	v_pack_b32_f16 v17, v20, v48
	v_pack_b32_f16 v19, v49, v53
	v_pack_b32_f16 v55, v60, v61
	v_pack_b32_f16 v56, v13, v50
	v_pack_b32_f16 v57, v11, v52
	ds_write_b32 v25, v18 offset:240
	v_pack_b32_f16 v18, v14, v51
	ds_write2_b32 v25, v15, v16 offset1:12
	ds_write_b32 v25, v54 offset:288
	ds_write2_b32 v25, v17, v19 offset0:24 offset1:36
	ds_write2_b32 v25, v55, v56 offset0:84 offset1:96
	ds_write2_b32 v46, v18, v57 offset1:60
	s_waitcnt lgkmcnt(0)
	s_barrier
	buffer_gl0_inv
	s_clause 0x5
	global_load_dword v48, v[8:9], off offset:480
	global_load_dword v54, v47, s[0:1] offset:80
	global_load_dword v55, v47, s[0:1] offset:160
	;; [unrolled: 1-line block ×5, first 2 shown]
	ds_read2_b32 v[15:16], v25 offset1:20
	ds_read2_b32 v[17:18], v25 offset0:40 offset1:60
	ds_read2_b32 v[19:20], v25 offset0:80 offset1:100
	s_waitcnt lgkmcnt(2)
	v_lshrrev_b32_e32 v59, 16, v15
	v_lshrrev_b32_e32 v60, 16, v16
	s_waitcnt lgkmcnt(1)
	v_lshrrev_b32_e32 v61, 16, v17
	v_lshrrev_b32_e32 v62, 16, v18
	;; [unrolled: 3-line block ×3, first 2 shown]
	s_waitcnt vmcnt(5)
	v_mul_f16_sdwa v65, v15, v48 dst_sel:DWORD dst_unused:UNUSED_PAD src0_sel:DWORD src1_sel:WORD_1
	v_mul_f16_sdwa v66, v59, v48 dst_sel:DWORD dst_unused:UNUSED_PAD src0_sel:DWORD src1_sel:WORD_1
	s_waitcnt vmcnt(4)
	v_mul_f16_sdwa v67, v60, v54 dst_sel:DWORD dst_unused:UNUSED_PAD src0_sel:DWORD src1_sel:WORD_1
	v_mul_f16_sdwa v68, v16, v54 dst_sel:DWORD dst_unused:UNUSED_PAD src0_sel:DWORD src1_sel:WORD_1
	;; [unrolled: 3-line block ×6, first 2 shown]
	v_fmac_f16_e32 v65, v59, v48
	v_fma_f16 v15, v15, v48, -v66
	v_fma_f16 v16, v16, v54, -v67
	v_fmac_f16_e32 v68, v60, v54
	v_fmac_f16_e32 v70, v61, v55
	v_fma_f16 v17, v17, v55, -v69
	v_fma_f16 v18, v18, v56, -v71
	v_fmac_f16_e32 v72, v62, v56
	v_fma_f16 v19, v19, v57, -v73
	v_fmac_f16_e32 v74, v63, v57
	;; [unrolled: 2-line block ×3, first 2 shown]
	v_pack_b32_f16 v15, v15, v65
	v_pack_b32_f16 v16, v16, v68
	;; [unrolled: 1-line block ×6, first 2 shown]
	ds_write2_b32 v25, v15, v16 offset1:20
	ds_write2_b32 v25, v17, v18 offset0:40 offset1:60
	ds_write2_b32 v25, v19, v20 offset0:80 offset1:100
	s_and_saveexec_b32 s4, vcc_lo
	s_cbranch_execz .LBB0_9
; %bb.8:
	v_add_co_u32 v15, s0, s0, v47
	v_add_co_ci_u32_e64 v16, null, s1, 0, s0
	s_clause 0x5
	global_load_dword v47, v[15:16], off offset:48
	global_load_dword v48, v[15:16], off offset:128
	;; [unrolled: 1-line block ×6, first 2 shown]
	ds_read2_b32 v[15:16], v25 offset0:12 offset1:32
	ds_read2_b32 v[17:18], v25 offset0:52 offset1:72
	;; [unrolled: 1-line block ×3, first 2 shown]
	s_waitcnt lgkmcnt(2)
	v_lshrrev_b32_e32 v58, 16, v15
	v_lshrrev_b32_e32 v59, 16, v16
	s_waitcnt lgkmcnt(1)
	v_lshrrev_b32_e32 v60, 16, v17
	v_lshrrev_b32_e32 v61, 16, v18
	s_waitcnt lgkmcnt(0)
	v_lshrrev_b32_e32 v62, 16, v19
	v_lshrrev_b32_e32 v63, 16, v20
	s_waitcnt vmcnt(5)
	v_mul_f16_sdwa v64, v58, v47 dst_sel:DWORD dst_unused:UNUSED_PAD src0_sel:DWORD src1_sel:WORD_1
	v_mul_f16_sdwa v65, v15, v47 dst_sel:DWORD dst_unused:UNUSED_PAD src0_sel:DWORD src1_sel:WORD_1
	s_waitcnt vmcnt(4)
	v_mul_f16_sdwa v66, v59, v48 dst_sel:DWORD dst_unused:UNUSED_PAD src0_sel:DWORD src1_sel:WORD_1
	v_mul_f16_sdwa v67, v16, v48 dst_sel:DWORD dst_unused:UNUSED_PAD src0_sel:DWORD src1_sel:WORD_1
	;; [unrolled: 3-line block ×6, first 2 shown]
	v_fma_f16 v15, v15, v47, -v64
	v_fmac_f16_e32 v65, v58, v47
	v_fma_f16 v16, v16, v48, -v66
	v_fmac_f16_e32 v67, v59, v48
	;; [unrolled: 2-line block ×6, first 2 shown]
	v_pack_b32_f16 v15, v15, v65
	v_pack_b32_f16 v16, v16, v67
	;; [unrolled: 1-line block ×6, first 2 shown]
	ds_write2_b32 v25, v15, v16 offset0:12 offset1:32
	ds_write2_b32 v25, v17, v18 offset0:52 offset1:72
	;; [unrolled: 1-line block ×3, first 2 shown]
.LBB0_9:
	s_or_b32 exec_lo, exec_lo, s4
	s_waitcnt lgkmcnt(0)
	s_barrier
	buffer_gl0_inv
	ds_read2_b32 v[17:18], v25 offset1:20
	ds_read2_b32 v[19:20], v25 offset0:40 offset1:60
	ds_read2_b32 v[15:16], v25 offset0:80 offset1:100
	s_and_saveexec_b32 s0, vcc_lo
	s_cbranch_execz .LBB0_11
; %bb.10:
	v_lshl_add_u32 v37, v31, 2, v35
	ds_read_b32 v49, v25 offset:48
	ds_read2_b32 v[13:14], v37 offset0:32 offset1:52
	ds_read2_b32 v[11:12], v37 offset0:72 offset1:92
	ds_read_b32 v37, v37 offset:448
	s_waitcnt lgkmcnt(3)
	v_lshrrev_b32_e32 v53, 16, v49
	s_waitcnt lgkmcnt(2)
	v_lshrrev_b32_e32 v50, 16, v13
	v_lshrrev_b32_e32 v51, 16, v14
	s_waitcnt lgkmcnt(1)
	v_lshrrev_b32_e32 v52, 16, v11
	;; [unrolled: 3-line block ×3, first 2 shown]
.LBB0_11:
	s_or_b32 exec_lo, exec_lo, s0
	s_waitcnt lgkmcnt(0)
	v_pk_add_f16 v54, v20, v16
	v_pk_add_f16 v55, v20, v16 neg_lo:[0,1] neg_hi:[0,1]
	v_pk_add_f16 v56, v19, v15
	v_pk_add_f16 v57, v17, v19
	v_pk_add_f16 v19, v19, v15 neg_lo:[0,1] neg_hi:[0,1]
	v_pk_fma_f16 v54, v54, 0.5, v18 op_sel_hi:[1,0,1] neg_lo:[1,0,0] neg_hi:[1,0,0]
	v_pk_add_f16 v18, v18, v20
	v_pk_fma_f16 v17, v56, 0.5, v17 op_sel_hi:[1,0,1] neg_lo:[1,0,0] neg_hi:[1,0,0]
	v_pk_add_f16 v56, v57, v15
	v_add_nc_u32_e32 v48, 0x60, v25
	v_pk_fma_f16 v20, 0x3aee, v55, v54 op_sel:[0,0,1] op_sel_hi:[0,1,0] neg_lo:[0,1,0] neg_hi:[0,1,0]
	v_pk_fma_f16 v15, 0x3aee, v55, v54 op_sel:[0,0,1] op_sel_hi:[0,1,0]
	v_pk_add_f16 v16, v18, v16
	v_pk_fma_f16 v54, 0x3aee, v19, v17 op_sel:[0,0,1] op_sel_hi:[0,1,0] neg_lo:[0,1,0] neg_hi:[0,1,0]
	v_pk_fma_f16 v17, 0x3aee, v19, v17 op_sel:[0,0,1] op_sel_hi:[0,1,0]
	v_pk_mul_f16 v18, 0x3aee, v20 op_sel_hi:[0,1]
	v_lshrrev_b32_e32 v55, 16, v20
	v_lshrrev_b32_e32 v57, 16, v15
	v_mul_f16_e32 v20, -0.5, v20
	v_mul_f16_e32 v59, 0x3aee, v15
	v_pk_fma_f16 v58, 0xb8003800, v15, v18 op_sel:[0,0,1] op_sel_hi:[1,1,0]
	v_pk_fma_f16 v18, 0xb8003800, v15, v18 op_sel:[0,0,1] op_sel_hi:[1,1,0] neg_lo:[0,0,1] neg_hi:[0,0,1]
	v_add_nc_u32_e32 v47, 0x90, v25
	v_fmac_f16_e32 v20, 0x3aee, v57
	v_fma_f16 v55, v55, 0.5, -v59
	v_alignbit_b32 v57, v17, v54, 16
	v_bfi_b32 v19, 0xffff, v58, v18
	v_alignbit_b32 v59, v54, v17, 16
	v_add_f16_e32 v60, v54, v20
	v_add_f16_sdwa v54, v54, v55 dst_sel:DWORD dst_unused:UNUSED_PAD src0_sel:WORD_1 src1_sel:DWORD
	v_pack_b32_f16 v55, v55, v58
	v_pk_add_f16 v19, v17, v19
	v_alignbit_b32 v20, v20, v18, 16
	v_pk_add_f16 v15, v56, v16
	v_pk_add_f16 v18, v56, v16 neg_lo:[0,1] neg_hi:[0,1]
	v_alignbit_b32 v17, v60, v19, 16
	v_pack_b32_f16 v16, v54, v19
	v_pk_add_f16 v19, v57, v55 neg_lo:[0,1] neg_hi:[0,1]
	v_pk_add_f16 v20, v59, v20 neg_lo:[0,1] neg_hi:[0,1]
	s_barrier
	buffer_gl0_inv
	ds_write2_b64 v41, v[15:16], v[17:18] offset1:1
	ds_write_b64 v41, v[19:20] offset:16
	s_and_saveexec_b32 s0, vcc_lo
	s_cbranch_execz .LBB0_13
; %bb.12:
	v_add_f16_e32 v15, v39, v52
	v_add_f16_e32 v18, v37, v11
	v_sub_f16_e32 v19, v11, v37
	v_add_f16_e32 v16, v40, v51
	v_sub_f16_e32 v20, v52, v39
	v_fma_f16 v15, -0.5, v15, v50
	v_add_f16_e32 v41, v51, v53
	v_fma_f16 v18, -0.5, v18, v13
	v_add_f16_e32 v50, v52, v50
	v_add_f16_e32 v54, v12, v14
	v_fmamk_f16 v52, v19, 0xbaee, v15
	v_fmac_f16_e32 v15, 0x3aee, v19
	v_sub_f16_e32 v17, v14, v12
	v_fma_f16 v16, -0.5, v16, v53
	v_fmamk_f16 v53, v20, 0x3aee, v18
	v_mul_f16_e32 v19, -0.5, v52
	v_sub_f16_e32 v51, v51, v40
	v_fmac_f16_e32 v18, 0xbaee, v20
	v_mul_f16_e32 v20, 0.5, v15
	v_add_f16_e32 v40, v40, v41
	v_fma_f16 v41, -0.5, v54, v49
	v_add_f16_e32 v39, v39, v50
	v_mul_f16_e32 v50, 0xbaee, v52
	v_mul_f16_e32 v15, 0xbaee, v15
	v_add_f16_e32 v14, v14, v49
	v_add_f16_e32 v11, v11, v13
	v_fmamk_f16 v55, v17, 0xbaee, v16
	v_fmac_f16_e32 v19, 0x3aee, v53
	v_fmac_f16_e32 v16, 0x3aee, v17
	;; [unrolled: 1-line block ×3, first 2 shown]
	v_fmamk_f16 v52, v51, 0x3aee, v41
	v_fmac_f16_e32 v50, -0.5, v53
	v_fmac_f16_e32 v41, 0xbaee, v51
	v_fmac_f16_e32 v15, 0.5, v18
	v_add_f16_e32 v12, v12, v14
	v_add_f16_e32 v11, v37, v11
	v_sub_f16_e32 v17, v55, v19
	v_sub_f16_e32 v18, v16, v20
	;; [unrolled: 1-line block ×5, first 2 shown]
	v_add_f16_e32 v14, v55, v19
	v_add_f16_e32 v16, v16, v20
	;; [unrolled: 1-line block ×6, first 2 shown]
	v_sub_f16_e32 v37, v52, v50
	v_lshl_add_u32 v35, v38, 2, v35
	v_pack_b32_f16 v11, v19, v14
	v_pack_b32_f16 v14, v15, v16
	;; [unrolled: 1-line block ×6, first 2 shown]
	ds_write2_b64 v35, v[13:14], v[11:12] offset1:1
	ds_write_b64 v35, v[15:16] offset:16
.LBB0_13:
	s_or_b32 exec_lo, exec_lo, s0
	s_waitcnt lgkmcnt(0)
	s_barrier
	buffer_gl0_inv
	ds_read2_b32 v[11:12], v25 offset1:12
	ds_read2_b32 v[13:14], v25 offset0:24 offset1:36
	ds_read2_b32 v[15:16], v25 offset0:48 offset1:60
	;; [unrolled: 1-line block ×4, first 2 shown]
	s_waitcnt lgkmcnt(0)
	s_barrier
	buffer_gl0_inv
	s_mov_b32 s4, 0x11111111
	s_mov_b32 s5, 0x3f811111
	s_mul_hi_u32 s6, s20, 0x50
	s_mul_i32 s7, s20, 0x50
	v_lshrrev_b32_e32 v37, 16, v12
	v_lshrrev_b32_e32 v38, 16, v13
	;; [unrolled: 1-line block ×4, first 2 shown]
	v_mul_f16_sdwa v53, v4, v12 dst_sel:DWORD dst_unused:UNUSED_PAD src0_sel:WORD_1 src1_sel:DWORD
	v_mul_f16_sdwa v54, v5, v13 dst_sel:DWORD dst_unused:UNUSED_PAD src0_sel:WORD_1 src1_sel:DWORD
	v_lshrrev_b32_e32 v41, 16, v16
	v_lshrrev_b32_e32 v49, 16, v17
	v_mul_f16_sdwa v55, v6, v14 dst_sel:DWORD dst_unused:UNUSED_PAD src0_sel:WORD_1 src1_sel:DWORD
	v_mul_f16_sdwa v56, v7, v15 dst_sel:DWORD dst_unused:UNUSED_PAD src0_sel:WORD_1 src1_sel:DWORD
	;; [unrolled: 1-line block ×3, first 2 shown]
	v_fma_f16 v37, v4, v37, -v53
	v_mul_f16_sdwa v53, v5, v38 dst_sel:DWORD dst_unused:UNUSED_PAD src0_sel:WORD_1 src1_sel:DWORD
	v_mul_f16_sdwa v58, v6, v39 dst_sel:DWORD dst_unused:UNUSED_PAD src0_sel:WORD_1 src1_sel:DWORD
	v_fma_f16 v38, v5, v38, -v54
	v_mul_f16_sdwa v54, v7, v40 dst_sel:DWORD dst_unused:UNUSED_PAD src0_sel:WORD_1 src1_sel:DWORD
	v_lshrrev_b32_e32 v51, 16, v19
	v_fmac_f16_e32 v57, v4, v12
	v_fmac_f16_e32 v53, v5, v13
	;; [unrolled: 1-line block ×3, first 2 shown]
	v_fma_f16 v4, v6, v39, -v55
	v_mul_f16_sdwa v5, v0, v41 dst_sel:DWORD dst_unused:UNUSED_PAD src0_sel:WORD_1 src1_sel:DWORD
	v_fmac_f16_e32 v54, v7, v15
	v_fma_f16 v6, v7, v40, -v56
	v_mul_f16_sdwa v7, v0, v16 dst_sel:DWORD dst_unused:UNUSED_PAD src0_sel:WORD_1 src1_sel:DWORD
	v_mul_f16_sdwa v12, v1, v49 dst_sel:DWORD dst_unused:UNUSED_PAD src0_sel:WORD_1 src1_sel:DWORD
	v_lshrrev_b32_e32 v50, 16, v18
	v_fmac_f16_e32 v5, v0, v16
	v_mul_f16_sdwa v16, v3, v51 dst_sel:DWORD dst_unused:UNUSED_PAD src0_sel:WORD_1 src1_sel:DWORD
	v_fma_f16 v0, v0, v41, -v7
	v_fmac_f16_e32 v12, v1, v17
	v_mul_f16_sdwa v7, v3, v19 dst_sel:DWORD dst_unused:UNUSED_PAD src0_sel:WORD_1 src1_sel:DWORD
	v_lshrrev_b32_e32 v52, 16, v20
	v_mul_f16_sdwa v13, v1, v17 dst_sel:DWORD dst_unused:UNUSED_PAD src0_sel:WORD_1 src1_sel:DWORD
	v_mul_f16_sdwa v14, v2, v50 dst_sel:DWORD dst_unused:UNUSED_PAD src0_sel:WORD_1 src1_sel:DWORD
	v_add_f16_e32 v15, v54, v12
	v_fma_f16 v7, v3, v51, -v7
	v_fmac_f16_e32 v16, v3, v19
	v_lshrrev_b32_e32 v35, 16, v11
	v_fma_f16 v1, v1, v49, -v13
	v_fmac_f16_e32 v14, v2, v18
	v_mul_f16_sdwa v13, v2, v18 dst_sel:DWORD dst_unused:UNUSED_PAD src0_sel:WORD_1 src1_sel:DWORD
	v_mul_f16_sdwa v17, v36, v52 dst_sel:DWORD dst_unused:UNUSED_PAD src0_sel:WORD_1 src1_sel:DWORD
	v_add_f16_e32 v18, v11, v53
	v_fma_f16 v15, -0.5, v15, v11
	v_sub_f16_e32 v39, v38, v7
	v_add_f16_e32 v41, v53, v16
	v_fma_f16 v2, v2, v50, -v13
	v_fmac_f16_e32 v17, v36, v20
	v_add_f16_e32 v3, v18, v54
	v_fmamk_f16 v13, v39, 0xbb9c, v15
	v_sub_f16_e32 v18, v6, v1
	v_mul_f16_sdwa v20, v36, v20 dst_sel:DWORD dst_unused:UNUSED_PAD src0_sel:WORD_1 src1_sel:DWORD
	v_fmac_f16_e32 v11, -0.5, v41
	v_fmac_f16_e32 v15, 0x3b9c, v39
	v_add_f16_e32 v49, v35, v38
	v_sub_f16_e32 v19, v53, v54
	v_sub_f16_e32 v40, v16, v12
	v_fmac_f16_e32 v13, 0xb8b4, v18
	v_fma_f16 v20, v36, v52, -v20
	v_fmamk_f16 v36, v18, 0x3b9c, v11
	v_fmac_f16_e32 v15, 0x38b4, v18
	v_fmac_f16_e32 v11, 0xbb9c, v18
	v_add_f16_e32 v18, v49, v6
	v_add_f16_e32 v3, v3, v12
	;; [unrolled: 1-line block ×3, first 2 shown]
	v_sub_f16_e32 v40, v54, v53
	v_sub_f16_e32 v41, v12, v16
	v_add_f16_e32 v50, v6, v1
	v_fmac_f16_e32 v36, 0xb8b4, v39
	v_fmac_f16_e32 v11, 0x38b4, v39
	v_add_f16_e32 v18, v18, v1
	v_add_f16_e32 v39, v38, v7
	v_add_f16_e32 v3, v3, v16
	v_add_f16_e32 v40, v40, v41
	v_fma_f16 v41, -0.5, v50, v35
	v_sub_f16_e32 v16, v53, v16
	v_sub_f16_e32 v12, v54, v12
	;; [unrolled: 1-line block ×4, first 2 shown]
	v_fmac_f16_e32 v35, -0.5, v39
	v_add_f16_e32 v18, v18, v7
	v_sub_f16_e32 v6, v6, v38
	v_sub_f16_e32 v1, v1, v7
	v_add_f16_e32 v7, v57, v58
	v_fmac_f16_e32 v13, 0x34f2, v19
	v_fmac_f16_e32 v15, 0x34f2, v19
	;; [unrolled: 1-line block ×3, first 2 shown]
	v_fmamk_f16 v19, v16, 0x3b9c, v41
	v_fmac_f16_e32 v11, 0x34f2, v40
	v_fmac_f16_e32 v41, 0xbb9c, v16
	v_fmamk_f16 v40, v12, 0xbb9c, v35
	v_add_f16_e32 v1, v6, v1
	v_fmac_f16_e32 v35, 0x3b9c, v12
	v_add_f16_e32 v6, v7, v5
	v_add_f16_e32 v7, v5, v14
	v_fmac_f16_e32 v19, 0x38b4, v12
	v_fmac_f16_e32 v41, 0xb8b4, v12
	;; [unrolled: 1-line block ×4, first 2 shown]
	v_add_f16_e32 v6, v6, v14
	v_add_f16_e32 v12, v58, v17
	v_fma_f16 v7, -0.5, v7, v57
	v_sub_f16_e32 v16, v4, v20
	v_add_f16_e32 v39, v49, v50
	v_fmac_f16_e32 v40, 0x34f2, v1
	v_fmac_f16_e32 v35, 0x34f2, v1
	v_add_f16_e32 v1, v6, v17
	v_sub_f16_e32 v6, v0, v2
	v_fmac_f16_e32 v57, -0.5, v12
	v_fmamk_f16 v12, v16, 0xbb9c, v7
	v_fmac_f16_e32 v7, 0x3b9c, v16
	v_fmac_f16_e32 v19, 0x34f2, v39
	v_fmac_f16_e32 v41, 0x34f2, v39
	v_sub_f16_e32 v38, v58, v5
	v_sub_f16_e32 v39, v17, v14
	v_fmamk_f16 v49, v6, 0x3b9c, v57
	v_fmac_f16_e32 v57, 0xbb9c, v6
	v_sub_f16_e32 v50, v5, v58
	v_sub_f16_e32 v51, v14, v17
	v_fmac_f16_e32 v12, 0xb8b4, v6
	v_fmac_f16_e32 v7, 0x38b4, v6
	v_add_f16_e32 v6, v0, v2
	v_add_f16_e32 v38, v38, v39
	v_fmac_f16_e32 v49, 0xb8b4, v16
	v_fmac_f16_e32 v57, 0x38b4, v16
	v_add_f16_e32 v16, v4, v20
	v_add_f16_e32 v39, v50, v51
	v_fma_f16 v6, -0.5, v6, v37
	v_sub_f16_e32 v17, v58, v17
	v_fmac_f16_e32 v12, 0x34f2, v38
	v_fmac_f16_e32 v7, 0x34f2, v38
	v_add_f16_e32 v38, v37, v4
	v_sub_f16_e32 v5, v5, v14
	v_fmac_f16_e32 v37, -0.5, v16
	v_fmac_f16_e32 v49, 0x34f2, v39
	v_fmac_f16_e32 v57, 0x34f2, v39
	v_fmamk_f16 v14, v17, 0x3b9c, v6
	v_sub_f16_e32 v16, v4, v0
	v_sub_f16_e32 v39, v20, v2
	v_fmamk_f16 v50, v5, 0xbb9c, v37
	v_sub_f16_e32 v4, v0, v4
	v_sub_f16_e32 v51, v2, v20
	v_fmac_f16_e32 v37, 0x3b9c, v5
	v_fmac_f16_e32 v6, 0xbb9c, v17
	;; [unrolled: 1-line block ×3, first 2 shown]
	v_add_f16_e32 v16, v16, v39
	v_fmac_f16_e32 v50, 0x38b4, v17
	v_add_f16_e32 v4, v4, v51
	v_fmac_f16_e32 v37, 0xb8b4, v17
	v_fmac_f16_e32 v6, 0xb8b4, v5
	v_add_f16_e32 v0, v38, v0
	v_fmac_f16_e32 v14, 0x34f2, v16
	v_fmac_f16_e32 v50, 0x34f2, v4
	;; [unrolled: 1-line block ×4, first 2 shown]
	v_add_f16_e32 v0, v0, v2
	v_mul_f16_e32 v2, 0xb8b4, v14
	v_mul_f16_e32 v14, 0x3a79, v14
	;; [unrolled: 1-line block ×8, first 2 shown]
	v_add_f16_e32 v0, v0, v20
	v_fmac_f16_e32 v2, 0x3a79, v12
	v_fmac_f16_e32 v14, 0x38b4, v12
	;; [unrolled: 1-line block ×8, first 2 shown]
	v_add_f16_e32 v17, v3, v1
	v_add_f16_e32 v20, v13, v2
	;; [unrolled: 1-line block ×10, first 2 shown]
	v_sub_f16_e32 v1, v3, v1
	v_sub_f16_e32 v0, v18, v0
	;; [unrolled: 1-line block ×10, first 2 shown]
	v_pack_b32_f16 v7, v17, v7
	v_pack_b32_f16 v12, v20, v12
	v_pack_b32_f16 v15, v38, v49
	v_pack_b32_f16 v16, v39, v52
	v_pack_b32_f16 v17, v51, v53
	v_pack_b32_f16 v0, v1, v0
	v_pack_b32_f16 v1, v2, v11
	v_pack_b32_f16 v2, v3, v13
	v_pack_b32_f16 v3, v4, v14
	v_pack_b32_f16 v4, v5, v6
	ds_write2_b32 v42, v7, v12 offset1:6
	ds_write2_b32 v42, v15, v16 offset0:12 offset1:18
	ds_write2_b32 v42, v17, v0 offset0:24 offset1:30
	;; [unrolled: 1-line block ×4, first 2 shown]
	s_waitcnt lgkmcnt(0)
	s_barrier
	buffer_gl0_inv
	ds_read2_b32 v[0:1], v25 offset1:12
	ds_read2_b32 v[2:3], v25 offset0:48 offset1:60
	ds_read2_b32 v[4:5], v25 offset0:72 offset1:84
	;; [unrolled: 1-line block ×4, first 2 shown]
	s_waitcnt lgkmcnt(4)
	v_lshrrev_b32_e32 v13, 16, v0
	s_waitcnt lgkmcnt(3)
	v_lshrrev_b32_e32 v14, 16, v3
	;; [unrolled: 2-line block ×3, first 2 shown]
	v_mul_f16_sdwa v36, v45, v3 dst_sel:DWORD dst_unused:UNUSED_PAD src0_sel:WORD_1 src1_sel:DWORD
	v_lshrrev_b32_e32 v18, 16, v5
	s_waitcnt lgkmcnt(0)
	v_lshrrev_b32_e32 v35, 16, v11
	v_mul_f16_sdwa v20, v45, v14 dst_sel:DWORD dst_unused:UNUSED_PAD src0_sel:WORD_1 src1_sel:DWORD
	v_mul_f16_sdwa v40, v44, v5 dst_sel:DWORD dst_unused:UNUSED_PAD src0_sel:WORD_1 src1_sel:DWORD
	v_fma_f16 v14, v45, v14, -v36
	v_mul_f16_sdwa v36, v43, v4 dst_sel:DWORD dst_unused:UNUSED_PAD src0_sel:WORD_1 src1_sel:DWORD
	v_mul_f16_sdwa v39, v44, v18 dst_sel:DWORD dst_unused:UNUSED_PAD src0_sel:WORD_1 src1_sel:DWORD
	v_fmac_f16_e32 v20, v45, v3
	v_mul_f16_sdwa v3, v43, v16 dst_sel:DWORD dst_unused:UNUSED_PAD src0_sel:WORD_1 src1_sel:DWORD
	v_lshrrev_b32_e32 v38, 16, v12
	v_lshrrev_b32_e32 v15, 16, v1
	v_fma_f16 v16, v43, v16, -v36
	v_fmac_f16_e32 v39, v44, v5
	v_fmac_f16_e32 v3, v43, v4
	v_mul_f16_sdwa v4, v21, v35 dst_sel:DWORD dst_unused:UNUSED_PAD src0_sel:WORD_1 src1_sel:DWORD
	v_fma_f16 v5, v44, v18, -v40
	v_mul_f16_sdwa v18, v21, v11 dst_sel:DWORD dst_unused:UNUSED_PAD src0_sel:WORD_1 src1_sel:DWORD
	v_mul_f16_sdwa v36, v22, v12 dst_sel:DWORD dst_unused:UNUSED_PAD src0_sel:WORD_1 src1_sel:DWORD
	v_sub_f16_e32 v20, v0, v20
	v_fmac_f16_e32 v4, v21, v11
	v_mul_f16_sdwa v11, v22, v38 dst_sel:DWORD dst_unused:UNUSED_PAD src0_sel:WORD_1 src1_sel:DWORD
	v_sub_f16_e32 v14, v13, v14
	v_sub_f16_e32 v3, v1, v3
	;; [unrolled: 1-line block ×3, first 2 shown]
	v_lshrrev_b32_e32 v17, 16, v6
	v_lshrrev_b32_e32 v19, 16, v7
	v_fma_f16 v18, v21, v35, -v18
	v_lshrrev_b32_e32 v37, 16, v2
	v_fmac_f16_e32 v11, v22, v12
	v_fma_f16 v12, v22, v38, -v36
	v_fma_f16 v0, v0, 2.0, -v20
	v_fma_f16 v13, v13, 2.0, -v14
	v_fma_f16 v1, v1, 2.0, -v3
	v_fma_f16 v15, v15, 2.0, -v16
	v_sub_f16_e32 v21, v6, v39
	v_sub_f16_e32 v5, v17, v5
	;; [unrolled: 1-line block ×6, first 2 shown]
	v_pack_b32_f16 v0, v0, v13
	v_pack_b32_f16 v1, v1, v15
	v_fma_f16 v6, v6, 2.0, -v21
	v_fma_f16 v17, v17, 2.0, -v5
	v_fma_f16 v7, v7, 2.0, -v4
	v_fma_f16 v13, v19, 2.0, -v18
	v_fma_f16 v2, v2, 2.0, -v11
	v_fma_f16 v15, v37, 2.0, -v12
	v_pack_b32_f16 v14, v20, v14
	ds_write2_b32 v25, v0, v1 offset1:12
	v_pack_b32_f16 v0, v3, v16
	v_pack_b32_f16 v3, v21, v5
	;; [unrolled: 1-line block ×7, first 2 shown]
	ds_write2_b32 v25, v14, v0 offset0:60 offset1:72
	ds_write_b32 v48, v3 offset:240
	ds_write2_b32 v25, v1, v5 offset0:24 offset1:36
	ds_write_b32 v47, v4 offset:240
	ds_write2_b32 v46, v2, v6 offset1:60
	s_waitcnt lgkmcnt(0)
	s_barrier
	buffer_gl0_inv
	ds_read2_b32 v[0:1], v25 offset1:20
	s_waitcnt lgkmcnt(0)
	v_lshrrev_b32_e32 v4, 16, v0
	v_lshrrev_b32_e32 v13, 16, v1
	v_mul_f16_sdwa v2, v34, v4 dst_sel:DWORD dst_unused:UNUSED_PAD src0_sel:WORD_1 src1_sel:DWORD
	v_mul_f16_sdwa v12, v33, v13 dst_sel:DWORD dst_unused:UNUSED_PAD src0_sel:WORD_1 src1_sel:DWORD
	v_fmac_f16_e32 v2, v34, v0
	v_mul_f16_sdwa v0, v34, v0 dst_sel:DWORD dst_unused:UNUSED_PAD src0_sel:WORD_1 src1_sel:DWORD
	v_fmac_f16_e32 v12, v33, v1
	v_cvt_f32_f16_e32 v2, v2
	v_fma_f16 v0, v34, v4, -v0
	v_cvt_f64_f32_e32 v[2:3], v2
	v_cvt_f32_f16_e32 v0, v0
	v_cvt_f64_f32_e32 v[4:5], v0
	v_mul_f64 v[2:3], v[2:3], s[4:5]
	v_mul_f64 v[4:5], v[4:5], s[4:5]
	v_and_or_b32 v0, 0x1ff, v3, v2
	v_lshrrev_b32_e32 v2, 8, v3
	v_bfe_u32 v6, v3, 20, 11
	v_cmp_ne_u32_e64 s0, 0, v0
	v_and_or_b32 v4, 0x1ff, v5, v4
	v_add_nc_u32_e32 v14, 0xfffffc10, v6
	v_lshrrev_b32_e32 v16, 8, v5
	v_bfe_u32 v17, v5, 20, 11
	v_cndmask_b32_e64 v0, 0, 1, s0
	v_and_or_b32 v2, 0xffe, v2, v0
	v_sub_nc_u32_e32 v0, 0x3f1, v6
	v_cvt_f32_f16_e32 v6, v12
	v_or_b32_e32 v7, 0x1000, v2
	v_med3_i32 v0, v0, 0, 13
	v_lshl_or_b32 v15, v14, 12, v2
	v_lshrrev_b32_e32 v11, v0, v7
	v_lshlrev_b32_e32 v0, v0, v11
	v_cmp_ne_u32_e64 s0, v0, v7
	v_cvt_f64_f32_e32 v[6:7], v6
	v_cndmask_b32_e64 v0, 0, 1, s0
	v_cmp_ne_u32_e64 s0, 0, v4
	v_or_b32_e32 v0, v11, v0
	v_cndmask_b32_e64 v4, 0, 1, s0
	v_cmp_gt_i32_e64 s0, 1, v14
	v_mad_u64_u32 v[11:12], null, s22, v10, 0
	v_and_or_b32 v16, 0xffe, v16, v4
	v_cndmask_b32_e64 v15, v15, v0, s0
	v_sub_nc_u32_e32 v0, 0x3f1, v17
	v_add_nc_u32_e32 v17, 0xfffffc10, v17
	v_or_b32_e32 v18, 0x1000, v16
	v_and_b32_e32 v4, 7, v15
	v_med3_i32 v19, v0, 0, 13
	v_mov_b32_e32 v0, v12
	v_mul_f16_sdwa v12, v33, v1 dst_sel:DWORD dst_unused:UNUSED_PAD src0_sel:WORD_1 src1_sel:DWORD
	v_mul_f64 v[6:7], v[6:7], s[4:5]
	v_cmp_lt_i32_e64 s0, 5, v4
	v_cmp_eq_u32_e64 s1, 3, v4
	v_lshrrev_b32_e32 v4, v19, v18
	v_mad_u64_u32 v[0:1], null, s23, v10, v[0:1]
	v_lshrrev_b32_e32 v1, 2, v15
	v_fma_f16 v10, v33, v13, -v12
	v_lshlrev_b32_e32 v12, v19, v4
	s_or_b32 s0, s1, s0
	v_add_co_ci_u32_e64 v13, s0, 0, v1, s0
	v_cmp_ne_u32_e64 s0, v12, v18
	v_cvt_f32_f16_e32 v1, v10
	v_lshrrev_b32_e32 v18, 16, v3
	v_cndmask_b32_e64 v10, 0, 1, s0
	v_cmp_ne_u32_e64 s0, 0, v2
	v_cvt_f64_f32_e32 v[1:2], v1
	v_and_or_b32 v6, 0x1ff, v7, v6
	v_or_b32_e32 v4, v4, v10
	v_cndmask_b32_e64 v12, 0, 1, s0
	v_cmp_gt_i32_e64 s0, 31, v14
	v_lshl_or_b32 v10, v17, 12, v16
	v_bfe_u32 v19, v7, 20, 11
	v_lshl_or_b32 v12, v12, 9, 0x7c00
	v_cndmask_b32_e64 v13, 0x7c00, v13, s0
	v_cmp_gt_i32_e64 s0, 1, v17
	v_cndmask_b32_e64 v4, v10, v4, s0
	v_cmp_eq_u32_e64 s0, 0x40f, v14
	v_and_b32_e32 v3, 7, v4
	v_cndmask_b32_e64 v10, v13, v12, s0
	v_cmp_ne_u32_e64 s0, 0, v6
	v_lshrrev_b32_e32 v12, 8, v7
	v_lshrrev_b32_e32 v13, 2, v4
	v_cmp_eq_u32_e64 s1, 3, v3
	v_and_or_b32 v10, 0x8000, v18, v10
	v_cndmask_b32_e64 v6, 0, 1, s0
	v_cmp_lt_i32_e64 s0, 5, v3
	v_mul_f64 v[3:4], v[1:2], s[4:5]
	v_add_nc_u32_e32 v18, 0xfffffc10, v19
	v_and_b32_e32 v10, 0xffff, v10
	v_and_or_b32 v20, 0xffe, v12, v6
	v_sub_nc_u32_e32 v6, 0x3f1, v19
	s_or_b32 s0, s1, s0
	v_lshrrev_b32_e32 v7, 16, v7
	v_add_co_ci_u32_e64 v1, s0, 0, v13, s0
	v_or_b32_e32 v2, 0x1000, v20
	ds_read2_b32 v[13:14], v25 offset0:40 offset1:60
	v_med3_i32 v6, v6, 0, 13
	v_cmp_ne_u32_e64 s0, 0, v16
	v_mad_u64_u32 v[15:16], null, s20, v31, 0
	v_lshrrev_b32_e32 v21, v6, v2
	v_cndmask_b32_e64 v12, 0, 1, s0
	v_cmp_gt_i32_e64 s0, 31, v17
	v_lshlrev_b32_e32 v6, v6, v21
	v_lshl_or_b32 v22, v12, 9, 0x7c00
	v_cndmask_b32_e64 v1, 0x7c00, v1, s0
	v_cmp_eq_u32_e64 s0, 0x40f, v17
	v_and_or_b32 v3, 0x1ff, v4, v3
	v_mov_b32_e32 v12, v0
	v_mov_b32_e32 v0, v16
	v_lshrrev_b32_e32 v16, 8, v4
	v_cndmask_b32_e64 v17, v1, v22, s0
	v_cmp_ne_u32_e64 s0, v6, v2
	s_waitcnt lgkmcnt(0)
	v_lshrrev_b32_e32 v19, 16, v13
	v_mad_u64_u32 v[0:1], null, s21, v31, v[0:1]
	v_cndmask_b32_e64 v2, 0, 1, s0
	v_cmp_ne_u32_e64 s0, 0, v3
	v_mul_f16_sdwa v6, v32, v19 dst_sel:DWORD dst_unused:UNUSED_PAD src0_sel:WORD_1 src1_sel:DWORD
	v_or_b32_e32 v1, v21, v2
	v_lshl_or_b32 v2, v18, 12, v20
	v_cndmask_b32_e64 v3, 0, 1, s0
	v_bfe_u32 v21, v4, 20, 11
	v_cmp_gt_i32_e64 s0, 1, v18
	v_fmac_f16_e32 v6, v32, v13
	v_lshrrev_b32_e32 v4, 16, v4
	v_and_or_b32 v31, 0xffe, v16, v3
	v_lshrrev_b32_e32 v3, 16, v5
	v_cndmask_b32_e64 v22, v2, v1, s0
	v_sub_nc_u32_e32 v1, 0x3f1, v21
	v_cvt_f32_f16_e32 v2, v6
	v_or_b32_e32 v33, 0x1000, v31
	v_and_or_b32 v3, 0x8000, v3, v17
	v_and_b32_e32 v5, 7, v22
	v_med3_i32 v6, v1, 0, 13
	v_mov_b32_e32 v16, v0
	v_cvt_f64_f32_e32 v[1:2], v2
	v_lshl_or_b32 v17, v3, 16, v10
	v_cmp_lt_i32_e64 s0, 5, v5
	v_lshrrev_b32_e32 v0, v6, v33
	v_cmp_eq_u32_e64 s1, 3, v5
	v_lshrrev_b32_e32 v3, 2, v22
	v_lshlrev_b32_e32 v10, v6, v0
	s_or_b32 s0, s1, s0
	v_lshlrev_b64 v[5:6], 2, v[11:12]
	v_add_co_ci_u32_e64 v3, s0, 0, v3, s0
	v_cmp_ne_u32_e64 s0, v10, v33
	v_add_nc_u32_e32 v12, 0xfffffc10, v21
	v_mul_f16_sdwa v11, v32, v13 dst_sel:DWORD dst_unused:UNUSED_PAD src0_sel:WORD_1 src1_sel:DWORD
	v_cndmask_b32_e64 v10, 0, 1, s0
	v_cmp_ne_u32_e64 s0, 0, v20
	v_lshl_or_b32 v20, v12, 12, v31
	v_or_b32_e32 v10, v0, v10
	v_cndmask_b32_e64 v13, 0, 1, s0
	v_cmp_gt_i32_e64 s0, 31, v18
	v_mul_f64 v[0:1], v[1:2], s[4:5]
	v_fma_f16 v2, v32, v19, -v11
	v_lshl_or_b32 v13, v13, 9, 0x7c00
	v_cndmask_b32_e64 v11, 0x7c00, v3, s0
	v_cmp_gt_i32_e64 s0, 1, v12
	v_cndmask_b32_e64 v19, v20, v10, s0
	v_cvt_f32_f16_e32 v10, v2
	v_add_co_u32 v2, s0, s2, v5
	v_add_co_ci_u32_e64 v3, s0, s3, v6, s0
	v_and_b32_e32 v20, 7, v19
	v_cmp_eq_u32_e64 s0, 0x40f, v18
	v_cvt_f64_f32_e32 v[5:6], v10
	v_cmp_eq_u32_e64 s1, 3, v20
	v_cndmask_b32_e64 v13, v11, v13, s0
	v_cmp_lt_i32_e64 s0, 5, v20
	v_lshlrev_b64 v[10:11], 2, v[15:16]
	v_lshrrev_b32_e32 v15, 2, v19
	v_and_or_b32 v0, 0x1ff, v1, v0
	v_and_or_b32 v7, 0x8000, v7, v13
	s_or_b32 s0, s1, s0
	v_lshrrev_b32_e32 v16, 8, v1
	v_add_co_ci_u32_e64 v13, s0, 0, v15, s0
	v_cmp_ne_u32_e64 s0, 0, v31
	v_bfe_u32 v18, v1, 20, 11
	v_lshrrev_b32_e32 v19, 16, v14
	v_and_b32_e32 v7, 0xffff, v7
	s_mul_i32 s1, s21, 0x50
	v_cndmask_b32_e64 v15, 0, 1, s0
	v_cmp_ne_u32_e64 s0, 0, v0
	v_mul_f16_sdwa v20, v30, v19 dst_sel:DWORD dst_unused:UNUSED_PAD src0_sel:WORD_1 src1_sel:DWORD
	v_mul_f64 v[5:6], v[5:6], s[4:5]
	s_add_i32 s6, s6, s1
	v_lshl_or_b32 v15, v15, 9, 0x7c00
	v_cndmask_b32_e64 v0, 0, 1, s0
	v_cmp_gt_i32_e64 s0, 31, v12
	v_fmac_f16_e32 v20, v30, v14
	v_mul_f16_sdwa v14, v30, v14 dst_sel:DWORD dst_unused:UNUSED_PAD src0_sel:WORD_1 src1_sel:DWORD
	v_lshrrev_b32_e32 v32, 16, v1
	v_and_or_b32 v0, 0xffe, v16, v0
	v_cndmask_b32_e64 v13, 0x7c00, v13, s0
	v_sub_nc_u32_e32 v16, 0x3f1, v18
	v_cmp_eq_u32_e64 s0, 0x40f, v12
	v_add_nc_u32_e32 v18, 0xfffffc10, v18
	v_fma_f16 v14, v30, v19, -v14
	v_cndmask_b32_e64 v12, v13, v15, s0
	v_or_b32_e32 v15, 0x1000, v0
	v_med3_i32 v13, v16, 0, 13
	v_add_co_u32 v10, s0, v2, v10
	v_add_co_ci_u32_e64 v11, s0, v3, v11, s0
	v_lshrrev_b32_e32 v16, v13, v15
	v_and_or_b32 v4, 0x8000, v4, v12
	v_cvt_f32_f16_e32 v12, v20
	global_store_dword v[10:11], v17, off
	v_and_or_b32 v5, 0x1ff, v6, v5
	v_lshlrev_b32_e32 v17, v13, v16
	v_lshl_or_b32 v4, v4, 16, v7
	v_cvt_f64_f32_e32 v[12:13], v12
	v_cvt_f32_f16_e32 v14, v14
	v_cmp_ne_u32_e64 s0, v17, v15
	v_lshrrev_b32_e32 v15, 8, v6
	v_bfe_u32 v17, v6, 20, 11
	v_lshrrev_b32_e32 v6, 16, v6
	v_cndmask_b32_e64 v7, 0, 1, s0
	v_cmp_ne_u32_e64 s0, 0, v5
	v_or_b32_e32 v7, v16, v7
	v_cndmask_b32_e64 v5, 0, 1, s0
	v_lshl_or_b32 v16, v18, 12, v0
	v_cmp_gt_i32_e64 s0, 1, v18
	v_and_or_b32 v5, 0xffe, v15, v5
	v_sub_nc_u32_e32 v15, 0x3f1, v17
	v_cndmask_b32_e64 v7, v16, v7, s0
	v_mul_f64 v[12:13], v[12:13], s[4:5]
	v_add_co_u32 v10, s0, v10, s7
	v_or_b32_e32 v16, 0x1000, v5
	v_med3_i32 v15, v15, 0, 13
	v_and_b32_e32 v20, 7, v7
	v_add_co_ci_u32_e64 v11, s0, s6, v11, s0
	v_lshrrev_b32_e32 v7, 2, v7
	v_lshrrev_b32_e32 v21, v15, v16
	v_cmp_lt_i32_e64 s0, 5, v20
	v_cmp_eq_u32_e64 s1, 3, v20
	v_lshlrev_b32_e32 v19, v15, v21
	v_cvt_f64_f32_e32 v[14:15], v14
	s_or_b32 s0, s1, s0
	v_add_co_ci_u32_e64 v7, s0, 0, v7, s0
	v_cmp_ne_u32_e64 s2, v19, v16
	v_add_nc_u32_e32 v19, 0xfffffc10, v17
	v_cmp_gt_i32_e64 s0, 31, v18
	v_and_or_b32 v12, 0x1ff, v13, v12
	v_bfe_u32 v22, v13, 20, 11
	v_cndmask_b32_e64 v16, 0, 1, s2
	v_cmp_eq_u32_e64 s2, 0x40f, v18
	v_cndmask_b32_e64 v7, 0x7c00, v7, s0
	v_cmp_gt_i32_e64 s0, 1, v19
	v_or_b32_e32 v20, v21, v16
	v_lshl_or_b32 v21, v19, 12, v5
	ds_read2_b32 v[16:17], v25 offset0:80 offset1:100
	v_cndmask_b32_e64 v20, v21, v20, s0
	v_cmp_ne_u32_e64 s0, 0, v12
	v_lshrrev_b32_e32 v21, 8, v13
	v_mul_f64 v[14:15], v[14:15], s[4:5]
	v_lshrrev_b32_e32 v13, 16, v13
	v_and_b32_e32 v30, 7, v20
	v_cndmask_b32_e64 v12, 0, 1, s0
	v_cmp_ne_u32_e64 s0, 0, v0
	v_cmp_eq_u32_e64 s1, 3, v30
	v_and_or_b32 v12, 0xffe, v21, v12
	v_cndmask_b32_e64 v0, 0, 1, s0
	v_sub_nc_u32_e32 v21, 0x3f1, v22
	v_cmp_lt_i32_e64 s0, 5, v30
	v_add_nc_u32_e32 v22, 0xfffffc10, v22
	v_or_b32_e32 v30, 0x1000, v12
	v_lshl_or_b32 v0, v0, 9, 0x7c00
	v_med3_i32 v21, v21, 0, 13
	s_or_b32 s0, s1, s0
	s_waitcnt lgkmcnt(0)
	v_lshrrev_b32_e32 v18, 16, v16
	v_cndmask_b32_e64 v7, v7, v0, s2
	v_lshrrev_b32_e32 v0, 2, v20
	v_lshrrev_b32_e32 v20, v21, v30
	v_mul_f16_sdwa v31, v29, v18 dst_sel:DWORD dst_unused:UNUSED_PAD src0_sel:WORD_1 src1_sel:DWORD
	v_bfe_u32 v33, v15, 20, 11
	v_and_or_b32 v7, 0x8000, v32, v7
	v_add_co_ci_u32_e64 v0, s0, 0, v0, s0
	v_lshlrev_b32_e32 v1, v21, v20
	v_cmp_gt_i32_e64 s0, 31, v19
	v_fmac_f16_e32 v31, v29, v16
	v_mul_f16_sdwa v16, v29, v16 dst_sel:DWORD dst_unused:UNUSED_PAD src0_sel:WORD_1 src1_sel:DWORD
	v_and_b32_e32 v7, 0xffff, v7
	v_cndmask_b32_e64 v21, 0x7c00, v0, s0
	v_and_or_b32 v0, 0x1ff, v15, v14
	v_cmp_ne_u32_e64 s0, v1, v30
	v_cvt_f32_f16_e32 v1, v31
	v_lshrrev_b32_e32 v31, 8, v15
	v_cndmask_b32_e64 v14, 0, 1, s0
	v_cmp_ne_u32_e64 s0, 0, v0
	v_cvt_f64_f32_e32 v[0:1], v1
	v_or_b32_e32 v14, v20, v14
	v_cndmask_b32_e64 v30, 0, 1, s0
	v_cmp_ne_u32_e64 s0, 0, v5
	v_lshl_or_b32 v20, v22, 12, v12
	v_and_or_b32 v30, 0xffe, v31, v30
	v_sub_nc_u32_e32 v31, 0x3f1, v33
	v_cndmask_b32_e64 v5, 0, 1, s0
	v_cmp_gt_i32_e64 s0, 1, v22
	v_or_b32_e32 v34, 0x1000, v30
	v_med3_i32 v31, v31, 0, 13
	v_lshl_or_b32 v5, v5, 9, 0x7c00
	v_cndmask_b32_e64 v14, v20, v14, s0
	v_cmp_eq_u32_e64 s0, 0x40f, v19
	v_lshrrev_b32_e32 v19, v31, v34
	v_and_b32_e32 v20, 7, v14
	v_cndmask_b32_e64 v5, v21, v5, s0
	v_mul_f64 v[0:1], v[0:1], s[4:5]
	v_lshlrev_b32_e32 v21, v31, v19
	v_lshrrev_b32_e32 v14, 2, v14
	v_cmp_lt_i32_e64 s0, 5, v20
	v_and_or_b32 v31, 0x8000, v6, v5
	v_fma_f16 v5, v29, v18, -v16
	v_cmp_ne_u32_e64 s1, v21, v34
	v_add_nc_u32_e32 v16, 0xfffffc10, v33
	v_lshl_or_b32 v7, v31, 16, v7
	v_cvt_f32_f16_e32 v5, v5
	v_cndmask_b32_e64 v6, 0, 1, s1
	v_cmp_eq_u32_e64 s1, 3, v20
	v_or_b32_e32 v18, v19, v6
	s_or_b32 s0, s1, s0
	v_cvt_f64_f32_e32 v[5:6], v5
	v_add_co_ci_u32_e64 v14, s0, 0, v14, s0
	v_cmp_ne_u32_e64 s0, 0, v12
	v_lshl_or_b32 v19, v16, 12, v30
	v_and_or_b32 v0, 0x1ff, v1, v0
	v_bfe_u32 v20, v1, 20, 11
	v_cndmask_b32_e64 v12, 0, 1, s0
	v_cmp_gt_i32_e64 s0, 1, v16
	v_cmp_ne_u32_e64 s1, 0, v0
	v_lshl_or_b32 v12, v12, 9, 0x7c00
	v_cndmask_b32_e64 v18, v19, v18, s0
	v_cmp_gt_i32_e64 s0, 31, v22
	v_cndmask_b32_e64 v0, 0, 1, s1
	v_and_b32_e32 v19, 7, v18
	v_cndmask_b32_e64 v14, 0x7c00, v14, s0
	v_cmp_eq_u32_e64 s0, 0x40f, v22
	v_mul_f64 v[5:6], v[5:6], s[4:5]
	v_lshrrev_b32_e32 v18, 2, v18
	v_cmp_eq_u32_e64 s1, 3, v19
	v_lshrrev_b32_e32 v22, 16, v17
	v_cndmask_b32_e64 v12, v14, v12, s0
	v_lshrrev_b32_e32 v14, 8, v1
	v_cmp_lt_i32_e64 s0, 5, v19
	v_and_or_b32 v0, 0xffe, v14, v0
	v_sub_nc_u32_e32 v14, 0x3f1, v20
	s_or_b32 s0, s1, s0
	v_add_co_ci_u32_e64 v18, s0, 0, v18, s0
	v_cmp_ne_u32_e64 s0, 0, v30
	v_or_b32_e32 v21, 0x1000, v0
	v_med3_i32 v14, v14, 0, 13
	v_and_or_b32 v30, 0x8000, v13, v12
	v_mul_f16_sdwa v12, v28, v22 dst_sel:DWORD dst_unused:UNUSED_PAD src0_sel:WORD_1 src1_sel:DWORD
	v_cndmask_b32_e64 v19, 0, 1, s0
	v_cmp_gt_i32_e64 s0, 31, v16
	v_lshrrev_b32_e32 v29, v14, v21
	v_and_or_b32 v5, 0x1ff, v6, v5
	v_fmac_f16_e32 v12, v28, v17
	v_lshl_or_b32 v19, v19, 9, 0x7c00
	v_cndmask_b32_e64 v18, 0x7c00, v18, s0
	v_cmp_eq_u32_e64 s0, 0x40f, v16
	v_lshlrev_b32_e32 v13, v14, v29
	v_mul_f16_sdwa v14, v28, v17 dst_sel:DWORD dst_unused:UNUSED_PAD src0_sel:WORD_1 src1_sel:DWORD
	v_cvt_f32_f16_e32 v12, v12
	v_lshrrev_b32_e32 v17, 8, v6
	v_cndmask_b32_e64 v16, v18, v19, s0
	v_cmp_ne_u32_e64 s0, v13, v21
	v_fma_f16 v14, v28, v22, -v14
	v_lshrrev_b32_e32 v18, 16, v15
	v_cvt_f64_f32_e32 v[12:13], v12
	v_add_nc_u32_e32 v19, 0xfffffc10, v20
	v_cndmask_b32_e64 v15, 0, 1, s0
	v_cmp_ne_u32_e64 s0, 0, v5
	v_cvt_f32_f16_e32 v14, v14
	v_bfe_u32 v20, v6, 20, 11
	v_lshl_or_b32 v22, v19, 12, v0
	v_or_b32_e32 v21, v29, v15
	v_cndmask_b32_e64 v5, 0, 1, s0
	v_cvt_f64_f32_e32 v[14:15], v14
	v_cmp_gt_i32_e64 s0, 1, v19
	v_and_b32_e32 v29, 0xffff, v30
	v_and_or_b32 v18, 0x8000, v18, v16
	v_and_or_b32 v5, 0xffe, v17, v5
	v_sub_nc_u32_e32 v17, 0x3f1, v20
	v_cndmask_b32_e64 v21, v22, v21, s0
	v_add_co_u32 v16, s0, v10, s7
	v_or_b32_e32 v22, 0x1000, v5
	v_med3_i32 v28, v17, 0, 13
	v_and_b32_e32 v30, 7, v21
	v_add_co_ci_u32_e64 v17, s0, s6, v11, s0
	v_mul_f64 v[12:13], v[12:13], s[4:5]
	v_lshrrev_b32_e32 v31, v28, v22
	v_cmp_lt_i32_e64 s0, 5, v30
	v_cmp_eq_u32_e64 s1, 3, v30
	v_lshl_or_b32 v29, v18, 16, v29
	v_lshrrev_b32_e32 v18, 2, v21
	v_lshlrev_b32_e32 v28, v28, v31
	v_add_nc_u32_e32 v20, 0xfffffc10, v20
	s_or_b32 s0, s1, s0
	v_mul_f64 v[14:15], v[14:15], s[4:5]
	v_add_co_ci_u32_e64 v18, s0, 0, v18, s0
	v_cmp_ne_u32_e64 s2, v28, v22
	v_cmp_ne_u32_e64 s0, 0, v0
	v_lshl_or_b32 v22, v20, 12, v5
	v_lshrrev_b32_e32 v28, 16, v1
	v_lshrrev_b32_e32 v6, 16, v6
	v_cndmask_b32_e64 v21, 0, 1, s2
	v_cndmask_b32_e64 v0, 0, 1, s0
	v_cmp_gt_i32_e64 s0, 31, v19
	v_or_b32_e32 v21, v31, v21
	v_lshl_or_b32 v0, v0, 9, 0x7c00
	v_cndmask_b32_e64 v18, 0x7c00, v18, s0
	v_cmp_gt_i32_e64 s0, 1, v20
	v_and_or_b32 v12, 0x1ff, v13, v12
	v_cndmask_b32_e64 v21, v22, v21, s0
	v_cmp_eq_u32_e64 s0, 0x40f, v19
	v_and_or_b32 v14, 0x1ff, v15, v14
	v_bfe_u32 v19, v15, 20, 11
	v_cndmask_b32_e64 v22, v18, v0, s0
	v_cmp_ne_u32_e64 s0, 0, v12
	v_and_b32_e32 v0, 7, v21
	v_lshrrev_b32_e32 v12, 8, v13
	v_bfe_u32 v18, v13, 20, 11
	v_cmp_ne_u32_e64 s2, 0, v14
	v_cndmask_b32_e64 v1, 0, 1, s0
	v_cmp_lt_i32_e64 s0, 5, v0
	v_cmp_eq_u32_e64 s1, 3, v0
	v_sub_nc_u32_e32 v0, 0x3f1, v18
	v_lshrrev_b32_e32 v14, 8, v15
	v_and_or_b32 v12, 0xffe, v12, v1
	v_cndmask_b32_e64 v1, 0, 1, s2
	v_lshrrev_b32_e32 v21, 2, v21
	v_med3_i32 v0, v0, 0, 13
	s_or_b32 s0, s1, s0
	v_or_b32_e32 v30, 0x1000, v12
	v_and_or_b32 v14, 0xffe, v14, v1
	v_sub_nc_u32_e32 v1, 0x3f1, v19
	v_add_co_ci_u32_e64 v21, s0, 0, v21, s0
	v_lshrrev_b32_e32 v31, v0, v30
	v_or_b32_e32 v32, 0x1000, v14
	v_med3_i32 v33, v1, 0, 13
	v_cmp_gt_i32_e64 s0, 31, v20
	v_lshrrev_b32_e32 v13, 16, v13
	v_lshlrev_b32_e32 v34, v0, v31
	v_mad_u64_u32 v[0:1], null, s20, v27, 0
	v_cndmask_b32_e64 v21, 0x7c00, v21, s0
	v_lshrrev_b32_e32 v35, v33, v32
	v_cmp_ne_u32_e64 s0, 0, v5
	v_lshrrev_b32_e32 v15, 16, v15
	v_and_or_b32 v22, 0x8000, v28, v22
	v_cndmask_b32_e64 v5, 0, 1, s0
	v_cmp_ne_u32_e64 s0, v34, v30
	v_add_nc_u32_e32 v34, 0xfffffc10, v18
	v_lshlrev_b32_e32 v18, v33, v35
	v_add_nc_u32_e32 v33, 0xfffffc10, v19
	v_lshl_or_b32 v5, v5, 9, 0x7c00
	v_cndmask_b32_e64 v30, 0, 1, s0
	v_cmp_ne_u32_e64 s0, v18, v32
	v_mad_u64_u32 v[18:19], null, s21, v27, v[1:2]
	v_or_b32_e32 v30, v31, v30
	v_lshl_or_b32 v31, v34, 12, v12
	v_cndmask_b32_e64 v32, 0, 1, s0
	v_cmp_gt_i32_e64 s0, 1, v34
	v_lshl_or_b32 v27, v33, 12, v14
	v_or_b32_e32 v1, v35, v32
	v_cndmask_b32_e64 v19, v31, v30, s0
	v_cmp_eq_u32_e64 s0, 0x40f, v20
	v_cndmask_b32_e64 v5, v21, v5, s0
	v_cmp_gt_i32_e64 s0, 1, v33
	v_and_b32_e32 v21, 7, v19
	v_cndmask_b32_e64 v20, v27, v1, s0
	v_cmp_lt_i32_e64 s0, 5, v21
	v_cmp_eq_u32_e64 s1, 3, v21
	v_and_or_b32 v27, 0x8000, v6, v5
	v_lshrrev_b32_e32 v6, 2, v19
	v_and_b32_e32 v5, 7, v20
	v_mov_b32_e32 v1, v18
	s_or_b32 s0, s1, s0
	s_mul_i32 s1, s21, 40
	v_and_b32_e32 v18, 0xffff, v22
	v_cmp_lt_i32_e64 s2, 5, v5
	v_cmp_eq_u32_e64 s3, 3, v5
	v_add_co_ci_u32_e64 v5, s0, 0, v6, s0
	v_cmp_ne_u32_e64 s0, 0, v12
	v_lshrrev_b32_e32 v6, 2, v20
	v_lshlrev_b64 v[0:1], 2, v[0:1]
	v_lshl_or_b32 v18, v27, 16, v18
	v_cndmask_b32_e64 v12, 0, 1, s0
	s_or_b32 s0, s3, s2
	s_mul_hi_u32 s2, s20, 40
	v_add_co_ci_u32_e64 v6, s0, 0, v6, s0
	v_cmp_ne_u32_e64 s0, 0, v14
	v_lshl_or_b32 v12, v12, 9, 0x7c00
	s_add_i32 s1, s2, s1
	v_cndmask_b32_e64 v14, 0, 1, s0
	v_cmp_gt_i32_e64 s0, 31, v34
	v_lshl_or_b32 v14, v14, 9, 0x7c00
	v_cndmask_b32_e64 v5, 0x7c00, v5, s0
	v_cmp_gt_i32_e64 s0, 31, v33
	v_cndmask_b32_e64 v6, 0x7c00, v6, s0
	v_cmp_eq_u32_e64 s0, 0x40f, v34
	v_cndmask_b32_e64 v12, v5, v12, s0
	v_cmp_eq_u32_e64 s0, 0x40f, v33
	v_and_or_b32 v12, 0x8000, v13, v12
	v_cndmask_b32_e64 v14, v6, v14, s0
	v_add_co_u32 v5, s0, v16, s7
	v_add_co_ci_u32_e64 v6, s0, s6, v17, s0
	v_and_or_b32 v14, 0x8000, v15, v14
	v_and_b32_e32 v15, 0xffff, v12
	v_add_co_u32 v12, s0, v2, v0
	v_add_co_ci_u32_e64 v13, s0, v3, v1, s0
	s_mul_i32 s0, s20, 40
	v_lshl_or_b32 v14, v14, 16, v15
	s_lshl_b64 s[22:23], s[0:1], 2
	v_add_co_u32 v0, s0, v5, s22
	v_add_co_ci_u32_e64 v1, s0, s23, v6, s0
	global_store_dword v[10:11], v4, off
	global_store_dword v[16:17], v7, off
	global_store_dword v[5:6], v29, off
	global_store_dword v[12:13], v18, off
	global_store_dword v[0:1], v14, off
	s_and_b32 exec_lo, exec_lo, vcc_lo
	s_cbranch_execz .LBB0_15
; %bb.14:
	s_clause 0x5
	global_load_dword v4, v[8:9], off offset:48
	global_load_dword v18, v[8:9], off offset:128
	;; [unrolled: 1-line block ×6, first 2 shown]
	ds_read2_b32 v[5:6], v25 offset0:12 offset1:32
	ds_read2_b32 v[9:10], v25 offset0:52 offset1:72
	;; [unrolled: 1-line block ×3, first 2 shown]
	v_mad_u64_u32 v[7:8], null, s20, v24, 0
	v_mad_u64_u32 v[13:14], null, s20, v26, 0
	;; [unrolled: 1-line block ×3, first 2 shown]
	s_mul_i32 s0, s21, 0xfffffea0
	s_sub_i32 s0, s0, s20
	v_add_nc_u32_e32 v1, s0, v1
	s_waitcnt lgkmcnt(1)
	v_mad_u64_u32 v[15:16], null, s21, v24, v[8:9]
	v_lshrrev_b32_e32 v24, 16, v6
	v_lshrrev_b32_e32 v25, 16, v9
	s_waitcnt lgkmcnt(0)
	v_lshrrev_b32_e32 v27, 16, v11
	v_lshrrev_b32_e32 v28, 16, v12
	v_mad_u64_u32 v[16:17], null, s21, v26, v[14:15]
	v_lshrrev_b32_e32 v17, 16, v5
	v_mov_b32_e32 v8, v15
	v_lshrrev_b32_e32 v26, 16, v10
	v_mov_b32_e32 v14, v16
	v_lshlrev_b64 v[13:14], 2, v[13:14]
	s_waitcnt vmcnt(5)
	v_mul_f16_sdwa v15, v17, v4 dst_sel:DWORD dst_unused:UNUSED_PAD src0_sel:DWORD src1_sel:WORD_1
	v_mul_f16_sdwa v16, v5, v4 dst_sel:DWORD dst_unused:UNUSED_PAD src0_sel:DWORD src1_sel:WORD_1
	s_waitcnt vmcnt(4)
	v_mul_f16_sdwa v29, v24, v18 dst_sel:DWORD dst_unused:UNUSED_PAD src0_sel:DWORD src1_sel:WORD_1
	s_waitcnt vmcnt(3)
	v_mul_f16_sdwa v31, v25, v19 dst_sel:DWORD dst_unused:UNUSED_PAD src0_sel:DWORD src1_sel:WORD_1
	v_mul_f16_sdwa v30, v6, v18 dst_sel:DWORD dst_unused:UNUSED_PAD src0_sel:DWORD src1_sel:WORD_1
	v_fmac_f16_e32 v15, v5, v4
	v_fma_f16 v4, v4, v17, -v16
	v_mul_f16_sdwa v32, v9, v19 dst_sel:DWORD dst_unused:UNUSED_PAD src0_sel:DWORD src1_sel:WORD_1
	s_waitcnt vmcnt(2)
	v_mul_f16_sdwa v33, v26, v20 dst_sel:DWORD dst_unused:UNUSED_PAD src0_sel:DWORD src1_sel:WORD_1
	s_waitcnt vmcnt(1)
	v_mul_f16_sdwa v35, v27, v21 dst_sel:DWORD dst_unused:UNUSED_PAD src0_sel:DWORD src1_sel:WORD_1
	v_cvt_f32_f16_e32 v5, v15
	v_fmac_f16_e32 v29, v6, v18
	v_fmac_f16_e32 v31, v9, v19
	v_cvt_f32_f16_e32 v9, v4
	v_mul_f16_sdwa v34, v10, v20 dst_sel:DWORD dst_unused:UNUSED_PAD src0_sel:DWORD src1_sel:WORD_1
	v_cvt_f64_f32_e32 v[4:5], v5
	v_mul_f16_sdwa v36, v11, v21 dst_sel:DWORD dst_unused:UNUSED_PAD src0_sel:DWORD src1_sel:WORD_1
	s_waitcnt vmcnt(0)
	v_mul_f16_sdwa v37, v28, v22 dst_sel:DWORD dst_unused:UNUSED_PAD src0_sel:DWORD src1_sel:WORD_1
	v_fma_f16 v6, v18, v24, -v30
	v_fmac_f16_e32 v33, v10, v20
	v_fmac_f16_e32 v35, v11, v21
	v_cvt_f32_f16_e32 v11, v29
	v_cvt_f64_f32_e32 v[9:10], v9
	v_mul_f16_sdwa v38, v12, v22 dst_sel:DWORD dst_unused:UNUSED_PAD src0_sel:DWORD src1_sel:WORD_1
	v_fma_f16 v16, v19, v25, -v32
	v_fmac_f16_e32 v37, v12, v22
	v_cvt_f32_f16_e32 v6, v6
	v_cvt_f64_f32_e32 v[11:12], v11
	v_fma_f16 v17, v20, v26, -v34
	v_fma_f16 v18, v21, v27, -v36
	v_cvt_f32_f16_e32 v20, v31
	v_cvt_f32_f16_e32 v21, v16
	v_cvt_f64_f32_e32 v[15:16], v6
	v_fma_f16 v19, v22, v28, -v38
	v_cvt_f32_f16_e32 v24, v17
	v_cvt_f32_f16_e32 v28, v18
	v_cvt_f64_f32_e32 v[17:18], v20
	v_cvt_f32_f16_e32 v6, v35
	v_mul_f64 v[4:5], v[4:5], s[4:5]
	v_cvt_f32_f16_e32 v22, v33
	v_cvt_f32_f16_e32 v32, v19
	v_cvt_f64_f32_e32 v[19:20], v21
	v_cvt_f64_f32_e32 v[26:27], v6
	v_lshlrev_b64 v[6:7], 2, v[7:8]
	v_mul_f64 v[8:9], v[9:10], s[4:5]
	v_cvt_f64_f32_e32 v[21:22], v22
	v_cvt_f64_f32_e32 v[24:25], v24
	v_add_co_u32 v34, vcc_lo, v0, s22
	v_mul_f64 v[10:11], v[11:12], s[4:5]
	v_cvt_f32_f16_e32 v30, v37
	v_cvt_f64_f32_e32 v[28:29], v28
	v_add_co_ci_u32_e32 v35, vcc_lo, s23, v1, vcc_lo
	v_mul_f64 v[15:16], v[15:16], s[4:5]
	v_add_co_u32 v6, vcc_lo, v2, v6
	v_add_co_ci_u32_e32 v7, vcc_lo, v3, v7, vcc_lo
	v_mul_f64 v[17:18], v[17:18], s[4:5]
	v_and_or_b32 v4, 0x1ff, v5, v4
	v_cvt_f64_f32_e32 v[30:31], v30
	v_cvt_f64_f32_e32 v[32:33], v32
	v_mul_f64 v[19:20], v[19:20], s[4:5]
	v_mul_f64 v[26:27], v[26:27], s[4:5]
	v_cmp_ne_u32_e32 vcc_lo, 0, v4
	v_and_or_b32 v8, 0x1ff, v9, v8
	v_mul_f64 v[21:22], v[21:22], s[4:5]
	v_mul_f64 v[24:25], v[24:25], s[4:5]
	v_lshrrev_b32_e32 v12, 8, v5
	v_cndmask_b32_e64 v4, 0, 1, vcc_lo
	v_and_or_b32 v10, 0x1ff, v11, v10
	v_cmp_ne_u32_e32 vcc_lo, 0, v8
	v_mul_f64 v[28:29], v[28:29], s[4:5]
	v_bfe_u32 v36, v5, 20, 11
	v_lshrrev_b32_e32 v37, 8, v9
	v_and_or_b32 v15, 0x1ff, v16, v15
	v_cndmask_b32_e64 v8, 0, 1, vcc_lo
	v_cmp_ne_u32_e32 vcc_lo, 0, v10
	v_bfe_u32 v38, v9, 20, 11
	v_and_or_b32 v4, 0xffe, v12, v4
	v_and_or_b32 v17, 0x1ff, v18, v17
	v_lshrrev_b32_e32 v39, 8, v11
	v_cndmask_b32_e64 v10, 0, 1, vcc_lo
	v_cmp_ne_u32_e32 vcc_lo, 0, v15
	v_and_or_b32 v19, 0x1ff, v20, v19
	v_mul_f64 v[30:31], v[30:31], s[4:5]
	v_mul_f64 v[32:33], v[32:33], s[4:5]
	v_and_or_b32 v26, 0x1ff, v27, v26
	v_cndmask_b32_e64 v15, 0, 1, vcc_lo
	v_cmp_ne_u32_e32 vcc_lo, 0, v17
	v_and_or_b32 v21, 0x1ff, v22, v21
	v_and_or_b32 v24, 0x1ff, v25, v24
	v_bfe_u32 v40, v11, 20, 11
	v_bfe_u32 v42, v16, 20, 11
	v_cndmask_b32_e64 v17, 0, 1, vcc_lo
	v_cmp_ne_u32_e32 vcc_lo, 0, v19
	v_and_or_b32 v28, 0x1ff, v29, v28
	v_sub_nc_u32_e32 v59, 0x3f1, v36
	v_add_nc_u32_e32 v36, 0xfffffc10, v36
	v_sub_nc_u32_e32 v60, 0x3f1, v38
	v_cndmask_b32_e64 v19, 0, 1, vcc_lo
	v_cmp_ne_u32_e32 vcc_lo, 0, v21
	v_and_or_b32 v8, 0xffe, v37, v8
	v_lshrrev_b32_e32 v41, 8, v16
	v_bfe_u32 v44, v18, 20, 11
	v_bfe_u32 v46, v20, 20, 11
	v_cndmask_b32_e64 v21, 0, 1, vcc_lo
	v_cmp_ne_u32_e32 vcc_lo, 0, v24
	v_and_or_b32 v30, 0x1ff, v31, v30
	v_and_or_b32 v32, 0x1ff, v33, v32
	v_add_nc_u32_e32 v38, 0xfffffc10, v38
	v_sub_nc_u32_e32 v61, 0x3f1, v40
	v_cndmask_b32_e64 v24, 0, 1, vcc_lo
	v_cmp_ne_u32_e32 vcc_lo, 0, v26
	v_sub_nc_u32_e32 v62, 0x3f1, v42
	v_med3_i32 v12, v59, 0, 13
	v_med3_i32 v37, v60, 0, 13
	v_and_or_b32 v10, 0xffe, v39, v10
	v_cndmask_b32_e64 v26, 0, 1, vcc_lo
	v_cmp_ne_u32_e32 vcc_lo, 0, v28
	v_or_b32_e32 v59, 0x1000, v4
	v_lshl_or_b32 v60, v36, 12, v4
	v_lshrrev_b32_e32 v43, 8, v18
	v_lshrrev_b32_e32 v45, 8, v20
	v_cndmask_b32_e64 v28, 0, 1, vcc_lo
	v_cmp_ne_u32_e32 vcc_lo, 0, v30
	v_bfe_u32 v48, v22, 20, 11
	v_bfe_u32 v50, v25, 20, 11
	;; [unrolled: 1-line block ×3, first 2 shown]
	v_add_nc_u32_e32 v40, 0xfffffc10, v40
	v_cndmask_b32_e64 v30, 0, 1, vcc_lo
	v_cmp_ne_u32_e32 vcc_lo, 0, v32
	v_sub_nc_u32_e32 v63, 0x3f1, v44
	v_sub_nc_u32_e32 v64, 0x3f1, v46
	v_med3_i32 v39, v61, 0, 13
	v_and_or_b32 v15, 0xffe, v41, v15
	v_cndmask_b32_e64 v32, 0, 1, vcc_lo
	v_cmp_ne_u32_e32 vcc_lo, 0, v4
	v_med3_i32 v41, v62, 0, 13
	v_or_b32_e32 v61, 0x1000, v8
	v_lshl_or_b32 v62, v38, 12, v8
	v_lshrrev_b32_e32 v47, 8, v22
	v_cndmask_b32_e64 v4, 0, 1, vcc_lo
	v_cmp_ne_u32_e32 vcc_lo, 0, v8
	v_lshrrev_b32_e32 v49, 8, v25
	v_lshrrev_b32_e32 v51, 8, v27
	v_bfe_u32 v54, v29, 20, 11
	v_add_nc_u32_e32 v42, 0xfffffc10, v42
	v_cndmask_b32_e64 v8, 0, 1, vcc_lo
	v_cmp_ne_u32_e32 vcc_lo, 0, v10
	v_sub_nc_u32_e32 v65, 0x3f1, v48
	v_sub_nc_u32_e32 v66, 0x3f1, v50
	;; [unrolled: 1-line block ×3, first 2 shown]
	v_and_or_b32 v17, 0xffe, v43, v17
	v_med3_i32 v43, v63, 0, 13
	v_and_or_b32 v19, 0xffe, v45, v19
	v_med3_i32 v45, v64, 0, 13
	v_or_b32_e32 v63, 0x1000, v10
	v_lshl_or_b32 v64, v40, 12, v10
	v_cndmask_b32_e64 v10, 0, 1, vcc_lo
	v_cmp_ne_u32_e32 vcc_lo, 0, v15
	v_lshrrev_b32_e32 v53, 8, v29
	v_bfe_u32 v56, v31, 20, 11
	v_add_nc_u32_e32 v44, 0xfffffc10, v44
	v_sub_nc_u32_e32 v68, 0x3f1, v54
	v_and_or_b32 v21, 0xffe, v47, v21
	v_med3_i32 v47, v65, 0, 13
	v_and_or_b32 v24, 0xffe, v49, v24
	v_med3_i32 v49, v66, 0, 13
	;; [unrolled: 2-line block ×3, first 2 shown]
	v_or_b32_e32 v65, 0x1000, v15
	v_lshl_or_b32 v66, v42, 12, v15
	v_cndmask_b32_e64 v15, 0, 1, vcc_lo
	v_or_b32_e32 v67, 0x1000, v17
	v_cmp_ne_u32_e32 vcc_lo, 0, v17
	v_lshrrev_b32_e32 v55, 8, v31
	v_bfe_u32 v58, v33, 20, 11
	v_add_nc_u32_e32 v46, 0xfffffc10, v46
	v_sub_nc_u32_e32 v69, 0x3f1, v56
	v_and_or_b32 v28, 0xffe, v53, v28
	v_med3_i32 v53, v68, 0, 13
	v_lshl_or_b32 v68, v44, 12, v17
	v_cndmask_b32_e64 v17, 0, 1, vcc_lo
	v_cmp_ne_u32_e32 vcc_lo, 0, v19
	v_lshrrev_b32_e32 v84, v43, v67
	v_lshrrev_b32_e32 v57, 8, v33
	v_add_nc_u32_e32 v48, 0xfffffc10, v48
	v_sub_nc_u32_e32 v70, 0x3f1, v58
	v_and_or_b32 v30, 0xffe, v55, v30
	v_med3_i32 v55, v69, 0, 13
	v_or_b32_e32 v69, 0x1000, v19
	v_lshl_or_b32 v74, v46, 12, v19
	v_cndmask_b32_e64 v19, 0, 1, vcc_lo
	v_cmp_ne_u32_e32 vcc_lo, 0, v21
	v_lshlrev_b32_e32 v43, v43, v84
	v_add_nc_u32_e32 v50, 0xfffffc10, v50
	v_and_or_b32 v32, 0xffe, v57, v32
	v_med3_i32 v57, v70, 0, 13
	v_or_b32_e32 v70, 0x1000, v21
	v_lshl_or_b32 v76, v48, 12, v21
	v_cndmask_b32_e64 v21, 0, 1, vcc_lo
	v_cmp_ne_u32_e32 vcc_lo, 0, v24
	v_lshrrev_b32_e32 v81, v39, v63
	v_cmp_ne_u32_e64 s0, v43, v67
	v_lshrrev_b32_e32 v43, v12, v59
	v_add_nc_u32_e32 v52, 0xfffffc10, v52
	v_or_b32_e32 v71, 0x1000, v24
	v_lshl_or_b32 v77, v50, 12, v24
	v_cndmask_b32_e64 v24, 0, 1, vcc_lo
	v_cmp_ne_u32_e32 vcc_lo, 0, v26
	v_lshrrev_b32_e32 v83, v41, v65
	v_lshlrev_b32_e32 v39, v39, v81
	v_lshrrev_b32_e32 v67, v37, v61
	v_lshlrev_b32_e32 v12, v12, v43
	v_or_b32_e32 v72, 0x1000, v26
	v_lshl_or_b32 v78, v52, 12, v26
	v_cndmask_b32_e64 v26, 0, 1, vcc_lo
	v_lshrrev_b32_e32 v85, v45, v69
	v_cmp_ne_u32_e32 vcc_lo, v39, v63
	v_cmp_ne_u32_e64 s1, v12, v59
	v_lshlrev_b32_e32 v41, v41, v83
	v_lshlrev_b32_e32 v37, v37, v67
	v_lshrrev_b32_e32 v86, v47, v70
	v_lshlrev_b32_e32 v45, v45, v85
	v_cndmask_b32_e64 v59, 0, 1, s1
	v_lshrrev_b32_e32 v87, v49, v71
	v_cmp_ne_u32_e64 s1, v37, v61
	v_cndmask_b32_e64 v61, 0, 1, vcc_lo
	v_cmp_ne_u32_e32 vcc_lo, v41, v65
	v_lshlrev_b32_e32 v47, v47, v86
	v_or_b32_e32 v73, 0x1000, v28
	v_lshrrev_b32_e32 v88, v51, v72
	v_lshlrev_b32_e32 v49, v49, v87
	v_cndmask_b32_e64 v41, 0, 1, vcc_lo
	v_cmp_ne_u32_e32 vcc_lo, v45, v69
	v_or_b32_e32 v75, 0x1000, v30
	v_lshrrev_b32_e32 v39, v53, v73
	v_lshlrev_b32_e32 v51, v51, v88
	v_cndmask_b32_e64 v37, 0, 1, s1
	v_cndmask_b32_e64 v45, 0, 1, vcc_lo
	v_cmp_ne_u32_e32 vcc_lo, v47, v70
	v_lshrrev_b32_e32 v63, v55, v75
	v_lshlrev_b32_e32 v53, v53, v39
	v_or_b32_e32 v43, v43, v59
	v_or_b32_e32 v37, v67, v37
	v_cndmask_b32_e64 v47, 0, 1, vcc_lo
	v_cmp_ne_u32_e32 vcc_lo, v49, v71
	v_lshlrev_b32_e32 v55, v55, v63
	v_or_b32_e32 v59, v81, v61
	v_cndmask_b32_e64 v65, 0, 1, s0
	v_or_b32_e32 v41, v83, v41
	v_cndmask_b32_e64 v49, 0, 1, vcc_lo
	v_cmp_ne_u32_e32 vcc_lo, v51, v72
	v_or_b32_e32 v45, v85, v45
	v_or_b32_e32 v61, v84, v65
	;; [unrolled: 1-line block ×4, first 2 shown]
	v_cndmask_b32_e64 v51, 0, 1, vcc_lo
	v_cmp_ne_u32_e32 vcc_lo, v53, v73
	v_add_nc_u32_e32 v54, 0xfffffc10, v54
	v_lshl_or_b32 v4, v4, 9, 0x7c00
	v_lshl_or_b32 v8, v8, 9, 0x7c00
	v_or_b32_e32 v51, v88, v51
	v_cndmask_b32_e64 v53, 0, 1, vcc_lo
	v_cmp_ne_u32_e32 vcc_lo, v55, v75
	v_lshl_or_b32 v79, v54, 12, v28
	v_lshl_or_b32 v10, v10, 9, 0x7c00
	v_lshl_or_b32 v15, v15, 9, 0x7c00
	v_or_b32_e32 v39, v39, v53
	v_cndmask_b32_e64 v55, 0, 1, vcc_lo
	v_cmp_gt_i32_e32 vcc_lo, 1, v36
	v_lshl_or_b32 v17, v17, 9, 0x7c00
	v_lshl_or_b32 v19, v19, 9, 0x7c00
	v_lshrrev_b32_e32 v5, 16, v5
	v_or_b32_e32 v53, v63, v55
	v_cndmask_b32_e32 v43, v60, v43, vcc_lo
	v_cmp_gt_i32_e32 vcc_lo, 1, v38
	v_lshl_or_b32 v21, v21, 9, 0x7c00
	v_lshrrev_b32_e32 v9, 16, v9
	v_lshl_or_b32 v24, v24, 9, 0x7c00
	v_and_b32_e32 v60, 7, v43
	v_cndmask_b32_e32 v37, v62, v37, vcc_lo
	v_cmp_gt_i32_e32 vcc_lo, 1, v40
	v_lshrrev_b32_e32 v43, 2, v43
	v_lshl_or_b32 v26, v26, 9, 0x7c00
	v_cmp_eq_u32_e64 s0, 3, v60
	v_add_nc_u32_e32 v56, 0xfffffc10, v56
	v_cndmask_b32_e32 v55, v64, v59, vcc_lo
	v_cmp_gt_i32_e32 vcc_lo, 1, v42
	v_or_b32_e32 v82, 0x1000, v32
	v_lshrrev_b32_e32 v11, 16, v11
	v_lshl_or_b32 v80, v56, 12, v30
	v_and_b32_e32 v62, 7, v55
	v_cndmask_b32_e32 v41, v66, v41, vcc_lo
	v_cmp_gt_i32_e32 vcc_lo, 1, v44
	v_lshrrev_b32_e32 v55, 2, v55
	v_lshrrev_b32_e32 v12, v57, v82
	v_cmp_lt_i32_e64 s3, 5, v62
	v_and_b32_e32 v63, 7, v41
	v_cndmask_b32_e32 v59, v68, v61, vcc_lo
	v_cmp_gt_i32_e32 vcc_lo, 1, v46
	v_and_b32_e32 v61, 7, v37
	v_lshrrev_b32_e32 v37, 2, v37
	v_cmp_eq_u32_e64 s4, 3, v62
	v_and_b32_e32 v64, 7, v59
	v_cndmask_b32_e32 v45, v74, v45, vcc_lo
	v_cmp_gt_i32_e32 vcc_lo, 1, v48
	v_cmp_lt_i32_e64 s1, 5, v61
	v_cmp_eq_u32_e64 s2, 3, v61
	v_cmp_lt_i32_e64 s5, 5, v63
	v_cmp_eq_u32_e64 s6, 3, v63
	v_cndmask_b32_e32 v47, v76, v47, vcc_lo
	v_cmp_gt_i32_e32 vcc_lo, 1, v50
	v_and_b32_e32 v65, 7, v45
	v_lshrrev_b32_e32 v41, 2, v41
	v_cmp_lt_i32_e64 s7, 5, v64
	v_cmp_eq_u32_e64 s8, 3, v64
	v_cndmask_b32_e32 v49, v77, v49, vcc_lo
	v_cmp_gt_i32_e32 vcc_lo, 1, v52
	v_and_b32_e32 v66, 7, v47
	v_lshrrev_b32_e32 v59, 2, v59
	v_cmp_lt_i32_e64 s9, 5, v65
	v_cmp_eq_u32_e64 s10, 3, v65
	v_cndmask_b32_e32 v51, v78, v51, vcc_lo
	v_cmp_gt_i32_e32 vcc_lo, 1, v54
	v_and_b32_e32 v67, 7, v49
	v_lshrrev_b32_e32 v45, 2, v45
	v_cmp_lt_i32_e64 s11, 5, v66
	v_cmp_eq_u32_e64 s12, 3, v66
	v_cndmask_b32_e32 v39, v79, v39, vcc_lo
	v_cmp_lt_i32_e32 vcc_lo, 5, v60
	v_and_b32_e32 v68, 7, v51
	v_lshrrev_b32_e32 v47, 2, v47
	v_cmp_lt_i32_e64 s13, 5, v67
	v_cmp_eq_u32_e64 s14, 3, v67
	s_or_b32 vcc_lo, s0, vcc_lo
	v_lshrrev_b32_e32 v49, 2, v49
	v_add_co_ci_u32_e32 v43, vcc_lo, 0, v43, vcc_lo
	s_or_b32 vcc_lo, s2, s1
	v_cmp_lt_i32_e64 s15, 5, v68
	v_add_co_ci_u32_e32 v37, vcc_lo, 0, v37, vcc_lo
	s_or_b32 vcc_lo, s4, s3
	v_cmp_eq_u32_e64 s16, 3, v68
	v_add_co_ci_u32_e32 v55, vcc_lo, 0, v55, vcc_lo
	s_or_b32 vcc_lo, s6, s5
	v_lshrrev_b32_e32 v51, 2, v51
	v_add_co_ci_u32_e32 v41, vcc_lo, 0, v41, vcc_lo
	s_or_b32 vcc_lo, s8, s7
	v_and_b32_e32 v69, 7, v39
	v_add_co_ci_u32_e32 v59, vcc_lo, 0, v59, vcc_lo
	s_or_b32 vcc_lo, s10, s9
	v_lshrrev_b32_e32 v39, 2, v39
	v_add_co_ci_u32_e32 v45, vcc_lo, 0, v45, vcc_lo
	s_or_b32 vcc_lo, s12, s11
	v_cmp_lt_i32_e64 s17, 5, v69
	v_add_co_ci_u32_e32 v47, vcc_lo, 0, v47, vcc_lo
	s_or_b32 vcc_lo, s14, s13
	v_cmp_eq_u32_e64 s18, 3, v69
	v_add_co_ci_u32_e32 v49, vcc_lo, 0, v49, vcc_lo
	s_or_b32 vcc_lo, s16, s15
	v_lshrrev_b32_e32 v16, 16, v16
	v_add_co_ci_u32_e32 v51, vcc_lo, 0, v51, vcc_lo
	v_cmp_gt_i32_e32 vcc_lo, 31, v36
	v_lshrrev_b32_e32 v18, 16, v18
	v_cmp_eq_u32_e64 s1, 0x40f, v54
	v_lshrrev_b32_e32 v22, 16, v22
	v_lshrrev_b32_e32 v20, 16, v20
	v_cndmask_b32_e32 v43, 0x7c00, v43, vcc_lo
	v_cmp_gt_i32_e32 vcc_lo, 31, v38
	v_lshrrev_b32_e32 v25, 16, v25
	v_lshrrev_b32_e32 v27, 16, v27
	v_cndmask_b32_e32 v37, 0x7c00, v37, vcc_lo
	v_cmp_gt_i32_e32 vcc_lo, 31, v40
	v_cndmask_b32_e32 v55, 0x7c00, v55, vcc_lo
	v_cmp_gt_i32_e32 vcc_lo, 31, v42
	;; [unrolled: 2-line block ×7, first 2 shown]
	v_cndmask_b32_e32 v51, 0x7c00, v51, vcc_lo
	v_cmp_eq_u32_e32 vcc_lo, 0x40f, v36
	v_cndmask_b32_e32 v4, v43, v4, vcc_lo
	v_cmp_eq_u32_e32 vcc_lo, 0x40f, v38
	v_and_or_b32 v4, 0x8000, v5, v4
	v_cndmask_b32_e32 v8, v37, v8, vcc_lo
	v_cmp_eq_u32_e32 vcc_lo, 0x40f, v40
	v_and_b32_e32 v4, 0xffff, v4
	v_and_or_b32 v5, 0x8000, v9, v8
	v_cndmask_b32_e32 v10, v55, v10, vcc_lo
	v_cmp_eq_u32_e32 vcc_lo, 0x40f, v42
	v_lshl_or_b32 v4, v5, 16, v4
	v_and_or_b32 v8, 0x8000, v11, v10
	v_cndmask_b32_e32 v15, v41, v15, vcc_lo
	v_cmp_eq_u32_e32 vcc_lo, 0x40f, v44
	global_store_dword v[0:1], v4, off
	v_lshlrev_b32_e32 v4, v57, v12
	v_and_or_b32 v9, 0x8000, v16, v15
	v_cndmask_b32_e32 v17, v59, v17, vcc_lo
	v_cmp_eq_u32_e32 vcc_lo, 0x40f, v46
	v_and_b32_e32 v8, 0xffff, v8
	v_and_or_b32 v10, 0x8000, v18, v17
	v_cndmask_b32_e32 v19, v45, v19, vcc_lo
	v_cmp_eq_u32_e32 vcc_lo, 0x40f, v48
	v_lshl_or_b32 v18, v9, 16, v8
	v_add_nc_u32_e32 v9, 0xfffffc10, v58
	v_and_b32_e32 v10, 0xffff, v10
	v_and_or_b32 v11, 0x8000, v20, v19
	v_cndmask_b32_e32 v21, v47, v21, vcc_lo
	v_cmp_eq_u32_e32 vcc_lo, 0x40f, v50
	v_lshl_or_b32 v10, v11, 16, v10
	v_and_or_b32 v15, 0x8000, v22, v21
	v_cndmask_b32_e32 v24, v49, v24, vcc_lo
	v_cmp_eq_u32_e32 vcc_lo, 0x40f, v52
	v_and_b32_e32 v15, 0xffff, v15
	v_and_or_b32 v16, 0x8000, v25, v24
	v_cndmask_b32_e32 v26, v51, v26, vcc_lo
	s_or_b32 vcc_lo, s18, s17
	v_add_co_ci_u32_e32 v0, vcc_lo, 0, v39, vcc_lo
	v_cmp_gt_i32_e32 vcc_lo, 1, v56
	v_lshl_or_b32 v11, v16, 16, v15
	v_and_or_b32 v17, 0x8000, v27, v26
	v_cndmask_b32_e32 v1, v80, v53, vcc_lo
	v_cmp_gt_i32_e32 vcc_lo, 31, v54
	v_and_b32_e32 v8, 7, v1
	v_cndmask_b32_e32 v0, 0x7c00, v0, vcc_lo
	v_cmp_ne_u32_e32 vcc_lo, 0, v28
	v_cmp_eq_u32_e64 s0, 3, v8
	v_cndmask_b32_e64 v5, 0, 1, vcc_lo
	v_cmp_ne_u32_e32 vcc_lo, v4, v82
	v_lshl_or_b32 v5, v5, 9, 0x7c00
	v_cndmask_b32_e64 v4, 0, 1, vcc_lo
	v_cmp_lt_i32_e32 vcc_lo, 5, v8
	v_lshl_or_b32 v8, v9, 12, v32
	v_or_b32_e32 v4, v12, v4
	v_cndmask_b32_e64 v12, v0, v5, s1
	v_lshrrev_b32_e32 v0, 2, v1
	v_cmp_gt_i32_e64 s1, 1, v9
	s_or_b32 vcc_lo, s0, vcc_lo
	v_add_co_ci_u32_e32 v0, vcc_lo, 0, v0, vcc_lo
	v_cndmask_b32_e64 v4, v8, v4, s1
	v_cmp_ne_u32_e32 vcc_lo, 0, v30
	v_cmp_eq_u32_e64 s1, 0x40f, v56
	v_lshrrev_b32_e32 v8, 16, v29
	v_and_b32_e32 v5, 7, v4
	v_cndmask_b32_e64 v1, 0, 1, vcc_lo
	v_cmp_gt_i32_e32 vcc_lo, 31, v56
	v_lshrrev_b32_e32 v4, 2, v4
	v_and_or_b32 v8, 0x8000, v8, v12
	v_cmp_eq_u32_e64 s0, 3, v5
	v_lshl_or_b32 v16, v1, 9, 0x7c00
	v_cndmask_b32_e32 v15, 0x7c00, v0, vcc_lo
	v_cmp_lt_i32_e32 vcc_lo, 5, v5
	v_mad_u64_u32 v[0:1], null, s20, v23, 0
	v_and_b32_e32 v12, 0xffff, v17
	v_cndmask_b32_e64 v15, v15, v16, s1
	s_or_b32 vcc_lo, s0, vcc_lo
	v_lshrrev_b32_e32 v16, 16, v31
	v_add_co_ci_u32_e32 v4, vcc_lo, 0, v4, vcc_lo
	v_cmp_ne_u32_e32 vcc_lo, 0, v32
	v_lshl_or_b32 v12, v8, 16, v12
	v_and_or_b32 v15, 0x8000, v16, v15
	v_lshrrev_b32_e32 v16, 16, v33
	v_cndmask_b32_e64 v19, 0, 1, vcc_lo
	v_cmp_gt_i32_e32 vcc_lo, 31, v9
	v_cndmask_b32_e32 v20, 0x7c00, v4, vcc_lo
	v_mad_u64_u32 v[4:5], null, s21, v23, v[1:2]
	v_lshl_or_b32 v1, v19, 9, 0x7c00
	v_cmp_eq_u32_e32 vcc_lo, 0x40f, v9
	v_cndmask_b32_e32 v9, v20, v1, vcc_lo
	v_mov_b32_e32 v1, v4
	v_add_co_u32 v4, vcc_lo, v2, v13
	v_add_co_ci_u32_e32 v5, vcc_lo, v3, v14, vcc_lo
	v_lshlrev_b64 v[0:1], 2, v[0:1]
	v_and_or_b32 v13, 0x8000, v16, v9
	v_and_b32_e32 v14, 0xffff, v15
	v_add_co_u32 v8, vcc_lo, v34, s22
	v_add_co_ci_u32_e32 v9, vcc_lo, s23, v35, vcc_lo
	v_add_co_u32 v0, vcc_lo, v2, v0
	v_lshl_or_b32 v13, v13, 16, v14
	v_add_co_ci_u32_e32 v1, vcc_lo, v3, v1, vcc_lo
	global_store_dword v[6:7], v18, off
	global_store_dword v[34:35], v10, off
	;; [unrolled: 1-line block ×5, first 2 shown]
.LBB0_15:
	s_endpgm
	.section	.rodata,"a",@progbits
	.p2align	6, 0x0
	.amdhsa_kernel bluestein_single_fwd_len120_dim1_half_op_CI_CI
		.amdhsa_group_segment_fixed_size 2400
		.amdhsa_private_segment_fixed_size 0
		.amdhsa_kernarg_size 104
		.amdhsa_user_sgpr_count 6
		.amdhsa_user_sgpr_private_segment_buffer 1
		.amdhsa_user_sgpr_dispatch_ptr 0
		.amdhsa_user_sgpr_queue_ptr 0
		.amdhsa_user_sgpr_kernarg_segment_ptr 1
		.amdhsa_user_sgpr_dispatch_id 0
		.amdhsa_user_sgpr_flat_scratch_init 0
		.amdhsa_user_sgpr_private_segment_size 0
		.amdhsa_wavefront_size32 1
		.amdhsa_uses_dynamic_stack 0
		.amdhsa_system_sgpr_private_segment_wavefront_offset 0
		.amdhsa_system_sgpr_workgroup_id_x 1
		.amdhsa_system_sgpr_workgroup_id_y 0
		.amdhsa_system_sgpr_workgroup_id_z 0
		.amdhsa_system_sgpr_workgroup_info 0
		.amdhsa_system_vgpr_workitem_id 0
		.amdhsa_next_free_vgpr 89
		.amdhsa_next_free_sgpr 24
		.amdhsa_reserve_vcc 1
		.amdhsa_reserve_flat_scratch 0
		.amdhsa_float_round_mode_32 0
		.amdhsa_float_round_mode_16_64 0
		.amdhsa_float_denorm_mode_32 3
		.amdhsa_float_denorm_mode_16_64 3
		.amdhsa_dx10_clamp 1
		.amdhsa_ieee_mode 1
		.amdhsa_fp16_overflow 0
		.amdhsa_workgroup_processor_mode 1
		.amdhsa_memory_ordered 1
		.amdhsa_forward_progress 0
		.amdhsa_shared_vgpr_count 0
		.amdhsa_exception_fp_ieee_invalid_op 0
		.amdhsa_exception_fp_denorm_src 0
		.amdhsa_exception_fp_ieee_div_zero 0
		.amdhsa_exception_fp_ieee_overflow 0
		.amdhsa_exception_fp_ieee_underflow 0
		.amdhsa_exception_fp_ieee_inexact 0
		.amdhsa_exception_int_div_zero 0
	.end_amdhsa_kernel
	.text
.Lfunc_end0:
	.size	bluestein_single_fwd_len120_dim1_half_op_CI_CI, .Lfunc_end0-bluestein_single_fwd_len120_dim1_half_op_CI_CI
                                        ; -- End function
	.section	.AMDGPU.csdata,"",@progbits
; Kernel info:
; codeLenInByte = 15192
; NumSgprs: 26
; NumVgprs: 89
; ScratchSize: 0
; MemoryBound: 0
; FloatMode: 240
; IeeeMode: 1
; LDSByteSize: 2400 bytes/workgroup (compile time only)
; SGPRBlocks: 3
; VGPRBlocks: 11
; NumSGPRsForWavesPerEU: 26
; NumVGPRsForWavesPerEU: 89
; Occupancy: 10
; WaveLimiterHint : 1
; COMPUTE_PGM_RSRC2:SCRATCH_EN: 0
; COMPUTE_PGM_RSRC2:USER_SGPR: 6
; COMPUTE_PGM_RSRC2:TRAP_HANDLER: 0
; COMPUTE_PGM_RSRC2:TGID_X_EN: 1
; COMPUTE_PGM_RSRC2:TGID_Y_EN: 0
; COMPUTE_PGM_RSRC2:TGID_Z_EN: 0
; COMPUTE_PGM_RSRC2:TIDIG_COMP_CNT: 0
	.text
	.p2alignl 6, 3214868480
	.fill 48, 4, 3214868480
	.type	__hip_cuid_921e68999d5d5bb9,@object ; @__hip_cuid_921e68999d5d5bb9
	.section	.bss,"aw",@nobits
	.globl	__hip_cuid_921e68999d5d5bb9
__hip_cuid_921e68999d5d5bb9:
	.byte	0                               ; 0x0
	.size	__hip_cuid_921e68999d5d5bb9, 1

	.ident	"AMD clang version 19.0.0git (https://github.com/RadeonOpenCompute/llvm-project roc-6.4.0 25133 c7fe45cf4b819c5991fe208aaa96edf142730f1d)"
	.section	".note.GNU-stack","",@progbits
	.addrsig
	.addrsig_sym __hip_cuid_921e68999d5d5bb9
	.amdgpu_metadata
---
amdhsa.kernels:
  - .args:
      - .actual_access:  read_only
        .address_space:  global
        .offset:         0
        .size:           8
        .value_kind:     global_buffer
      - .actual_access:  read_only
        .address_space:  global
        .offset:         8
        .size:           8
        .value_kind:     global_buffer
      - .actual_access:  read_only
        .address_space:  global
        .offset:         16
        .size:           8
        .value_kind:     global_buffer
      - .actual_access:  read_only
        .address_space:  global
        .offset:         24
        .size:           8
        .value_kind:     global_buffer
      - .actual_access:  read_only
        .address_space:  global
        .offset:         32
        .size:           8
        .value_kind:     global_buffer
      - .offset:         40
        .size:           8
        .value_kind:     by_value
      - .address_space:  global
        .offset:         48
        .size:           8
        .value_kind:     global_buffer
      - .address_space:  global
        .offset:         56
        .size:           8
        .value_kind:     global_buffer
      - .address_space:  global
        .offset:         64
        .size:           8
        .value_kind:     global_buffer
      - .address_space:  global
        .offset:         72
        .size:           8
        .value_kind:     global_buffer
      - .offset:         80
        .size:           4
        .value_kind:     by_value
      - .address_space:  global
        .offset:         88
        .size:           8
        .value_kind:     global_buffer
      - .address_space:  global
        .offset:         96
        .size:           8
        .value_kind:     global_buffer
    .group_segment_fixed_size: 2400
    .kernarg_segment_align: 8
    .kernarg_segment_size: 104
    .language:       OpenCL C
    .language_version:
      - 2
      - 0
    .max_flat_workgroup_size: 60
    .name:           bluestein_single_fwd_len120_dim1_half_op_CI_CI
    .private_segment_fixed_size: 0
    .sgpr_count:     26
    .sgpr_spill_count: 0
    .symbol:         bluestein_single_fwd_len120_dim1_half_op_CI_CI.kd
    .uniform_work_group_size: 1
    .uses_dynamic_stack: false
    .vgpr_count:     89
    .vgpr_spill_count: 0
    .wavefront_size: 32
    .workgroup_processor_mode: 1
amdhsa.target:   amdgcn-amd-amdhsa--gfx1030
amdhsa.version:
  - 1
  - 2
...

	.end_amdgpu_metadata
